;; amdgpu-corpus repo=ROCm/rocFFT kind=compiled arch=gfx906 opt=O3
	.text
	.amdgcn_target "amdgcn-amd-amdhsa--gfx906"
	.amdhsa_code_object_version 6
	.protected	fft_rtc_fwd_len208_factors_13_16_wgs_144_tpt_16_dp_ip_CI_sbcc_twdbase8_3step_dirReg ; -- Begin function fft_rtc_fwd_len208_factors_13_16_wgs_144_tpt_16_dp_ip_CI_sbcc_twdbase8_3step_dirReg
	.globl	fft_rtc_fwd_len208_factors_13_16_wgs_144_tpt_16_dp_ip_CI_sbcc_twdbase8_3step_dirReg
	.p2align	8
	.type	fft_rtc_fwd_len208_factors_13_16_wgs_144_tpt_16_dp_ip_CI_sbcc_twdbase8_3step_dirReg,@function
fft_rtc_fwd_len208_factors_13_16_wgs_144_tpt_16_dp_ip_CI_sbcc_twdbase8_3step_dirReg: ; @fft_rtc_fwd_len208_factors_13_16_wgs_144_tpt_16_dp_ip_CI_sbcc_twdbase8_3step_dirReg
; %bb.0:
	s_load_dwordx4 s[0:3], s[4:5], 0x18
	s_mov_b32 s7, 0
	s_mov_b64 s[24:25], 0
	s_waitcnt lgkmcnt(0)
	s_load_dwordx2 s[20:21], s[0:1], 0x8
	s_waitcnt lgkmcnt(0)
	s_add_u32 s8, s20, -1
	s_addc_u32 s9, s21, -1
	s_add_u32 s10, 0, 0x71c4fc00
	s_addc_u32 s11, 0, 0x7c
	s_mul_hi_u32 s13, s10, -9
	s_add_i32 s11, s11, 0x1c71c6a0
	s_sub_i32 s13, s13, s10
	s_mul_i32 s16, s11, -9
	s_mul_i32 s12, s10, -9
	s_add_i32 s13, s13, s16
	s_mul_hi_u32 s14, s11, s12
	s_mul_i32 s15, s11, s12
	s_mul_i32 s17, s10, s13
	s_mul_hi_u32 s12, s10, s12
	s_mul_hi_u32 s16, s10, s13
	s_add_u32 s12, s12, s17
	s_addc_u32 s16, 0, s16
	s_add_u32 s12, s12, s15
	s_mul_hi_u32 s17, s11, s13
	s_addc_u32 s12, s16, s14
	s_addc_u32 s14, s17, 0
	s_mul_i32 s13, s11, s13
	s_add_u32 s12, s12, s13
	v_mov_b32_e32 v1, s12
	s_addc_u32 s13, 0, s14
	v_add_co_u32_e32 v1, vcc, s10, v1
	s_cmp_lg_u64 vcc, 0
	s_addc_u32 s10, s11, s13
	v_readfirstlane_b32 s13, v1
	s_mul_i32 s12, s8, s10
	s_mul_hi_u32 s14, s8, s13
	s_mul_hi_u32 s11, s8, s10
	s_add_u32 s12, s14, s12
	s_addc_u32 s11, 0, s11
	s_mul_hi_u32 s15, s9, s13
	s_mul_i32 s13, s9, s13
	s_add_u32 s12, s12, s13
	s_mul_hi_u32 s14, s9, s10
	s_addc_u32 s11, s11, s15
	s_addc_u32 s12, s14, 0
	s_mul_i32 s10, s9, s10
	s_add_u32 s10, s11, s10
	s_addc_u32 s11, 0, s12
	s_add_u32 s12, s10, 1
	s_addc_u32 s13, s11, 0
	s_add_u32 s14, s10, 2
	s_mul_i32 s16, s11, 9
	s_mul_hi_u32 s17, s10, 9
	s_addc_u32 s15, s11, 0
	s_add_i32 s17, s17, s16
	s_mul_i32 s16, s10, 9
	v_mov_b32_e32 v1, s16
	v_sub_co_u32_e32 v1, vcc, s8, v1
	s_cmp_lg_u64 vcc, 0
	s_subb_u32 s8, s9, s17
	v_subrev_co_u32_e32 v2, vcc, 9, v1
	s_cmp_lg_u64 vcc, 0
	s_subb_u32 s9, s8, 0
	v_readfirstlane_b32 s16, v2
	s_cmp_gt_u32 s16, 8
	s_cselect_b32 s16, -1, 0
	s_cmp_eq_u32 s9, 0
	s_cselect_b32 s9, s16, -1
	s_cmp_lg_u32 s9, 0
	s_cselect_b32 s9, s14, s12
	s_cselect_b32 s12, s15, s13
	v_readfirstlane_b32 s13, v1
	s_cmp_gt_u32 s13, 8
	s_cselect_b32 s13, -1, 0
	s_cmp_eq_u32 s8, 0
	s_cselect_b32 s8, s13, -1
	s_cmp_lg_u32 s8, 0
	s_cselect_b32 s9, s9, s10
	s_cselect_b32 s8, s12, s11
	s_add_u32 s22, s9, 1
	s_addc_u32 s23, s8, 0
	v_mov_b32_e32 v1, s22
	v_mov_b32_e32 v2, s23
	v_cmp_lt_u64_e32 vcc, s[6:7], v[1:2]
	s_cbranch_vccnz .LBB0_2
; %bb.1:
	v_cvt_f32_u32_e32 v1, s22
	s_sub_i32 s8, 0, s22
	s_mov_b32 s25, s7
	v_rcp_iflag_f32_e32 v1, v1
	v_mul_f32_e32 v1, 0x4f7ffffe, v1
	v_cvt_u32_f32_e32 v1, v1
	v_readfirstlane_b32 s9, v1
	s_mul_i32 s8, s8, s9
	s_mul_hi_u32 s8, s9, s8
	s_add_i32 s9, s9, s8
	s_mul_hi_u32 s8, s6, s9
	s_mul_i32 s10, s8, s22
	s_sub_i32 s10, s6, s10
	s_add_i32 s9, s8, 1
	s_sub_i32 s11, s10, s22
	s_cmp_ge_u32 s10, s22
	s_cselect_b32 s8, s9, s8
	s_cselect_b32 s10, s11, s10
	s_add_i32 s9, s8, 1
	s_cmp_ge_u32 s10, s22
	s_cselect_b32 s24, s9, s8
.LBB0_2:
	s_load_dwordx2 s[16:17], s[4:5], 0x58
	s_load_dwordx4 s[8:11], s[2:3], 0x0
	s_load_dwordx2 s[18:19], s[4:5], 0x0
	s_load_dwordx4 s[12:15], s[4:5], 0x8
	s_mul_i32 s4, s24, s23
	s_mul_hi_u32 s5, s24, s22
	s_add_i32 s5, s5, s4
	s_mul_i32 s4, s24, s22
	s_sub_u32 s38, s6, s4
	s_subb_u32 s4, 0, s5
	s_mul_i32 s4, s4, 9
	s_mul_hi_u32 s33, s38, 9
	s_add_i32 s33, s33, s4
	s_mul_i32 s38, s38, 9
	s_waitcnt lgkmcnt(0)
	s_mul_i32 s4, s10, s33
	s_mul_hi_u32 s5, s10, s38
	s_add_i32 s4, s5, s4
	s_mul_i32 s5, s11, s38
	s_add_i32 s39, s4, s5
	v_cmp_lt_u64_e64 s[4:5], s[14:15], 3
	s_mul_i32 s40, s10, s38
	s_and_b64 vcc, exec, s[4:5]
	s_cbranch_vccnz .LBB0_12
; %bb.3:
	s_add_u32 s4, s2, 16
	s_addc_u32 s5, s3, 0
	s_add_u32 s26, s0, 16
	v_mov_b32_e32 v1, s14
	s_addc_u32 s27, s1, 0
	s_mov_b64 s[28:29], 2
	s_mov_b32 s30, 0
	v_mov_b32_e32 v2, s15
.LBB0_4:                                ; =>This Inner Loop Header: Depth=1
	s_load_dwordx2 s[34:35], s[26:27], 0x0
	s_waitcnt lgkmcnt(0)
	s_or_b64 s[0:1], s[24:25], s[34:35]
	s_mov_b32 s31, s1
	s_cmp_lg_u64 s[30:31], 0
	s_cbranch_scc0 .LBB0_9
; %bb.5:                                ;   in Loop: Header=BB0_4 Depth=1
	v_cvt_f32_u32_e32 v3, s34
	v_cvt_f32_u32_e32 v4, s35
	s_sub_u32 s0, 0, s34
	s_subb_u32 s1, 0, s35
	v_mac_f32_e32 v3, 0x4f800000, v4
	v_rcp_f32_e32 v3, v3
	v_mul_f32_e32 v3, 0x5f7ffffc, v3
	v_mul_f32_e32 v4, 0x2f800000, v3
	v_trunc_f32_e32 v4, v4
	v_mac_f32_e32 v3, 0xcf800000, v4
	v_cvt_u32_f32_e32 v4, v4
	v_cvt_u32_f32_e32 v3, v3
	v_readfirstlane_b32 s31, v4
	v_readfirstlane_b32 s36, v3
	s_mul_i32 s37, s0, s31
	s_mul_hi_u32 s42, s0, s36
	s_mul_i32 s41, s1, s36
	s_add_i32 s37, s42, s37
	s_mul_i32 s43, s0, s36
	s_add_i32 s37, s37, s41
	s_mul_hi_u32 s41, s36, s37
	s_mul_i32 s42, s36, s37
	s_mul_hi_u32 s36, s36, s43
	s_add_u32 s36, s36, s42
	s_addc_u32 s41, 0, s41
	s_mul_hi_u32 s44, s31, s43
	s_mul_i32 s43, s31, s43
	s_add_u32 s36, s36, s43
	s_mul_hi_u32 s42, s31, s37
	s_addc_u32 s36, s41, s44
	s_addc_u32 s41, s42, 0
	s_mul_i32 s37, s31, s37
	s_add_u32 s36, s36, s37
	s_addc_u32 s37, 0, s41
	v_add_co_u32_e32 v3, vcc, s36, v3
	s_cmp_lg_u64 vcc, 0
	s_addc_u32 s31, s31, s37
	v_readfirstlane_b32 s37, v3
	s_mul_i32 s36, s0, s31
	s_mul_hi_u32 s41, s0, s37
	s_add_i32 s36, s41, s36
	s_mul_i32 s1, s1, s37
	s_add_i32 s36, s36, s1
	s_mul_i32 s0, s0, s37
	s_mul_hi_u32 s41, s31, s0
	s_mul_i32 s42, s31, s0
	s_mul_i32 s44, s37, s36
	s_mul_hi_u32 s0, s37, s0
	s_mul_hi_u32 s43, s37, s36
	s_add_u32 s0, s0, s44
	s_addc_u32 s37, 0, s43
	s_add_u32 s0, s0, s42
	s_mul_hi_u32 s1, s31, s36
	s_addc_u32 s0, s37, s41
	s_addc_u32 s1, s1, 0
	s_mul_i32 s36, s31, s36
	s_add_u32 s0, s0, s36
	s_addc_u32 s1, 0, s1
	v_add_co_u32_e32 v3, vcc, s0, v3
	s_cmp_lg_u64 vcc, 0
	s_addc_u32 s0, s31, s1
	v_readfirstlane_b32 s36, v3
	s_mul_i32 s31, s24, s0
	s_mul_hi_u32 s37, s24, s36
	s_mul_hi_u32 s1, s24, s0
	s_add_u32 s31, s37, s31
	s_addc_u32 s1, 0, s1
	s_mul_hi_u32 s41, s25, s36
	s_mul_i32 s36, s25, s36
	s_add_u32 s31, s31, s36
	s_mul_hi_u32 s37, s25, s0
	s_addc_u32 s1, s1, s41
	s_addc_u32 s31, s37, 0
	s_mul_i32 s0, s25, s0
	s_add_u32 s36, s1, s0
	s_addc_u32 s31, 0, s31
	s_mul_i32 s0, s34, s31
	s_mul_hi_u32 s1, s34, s36
	s_add_i32 s0, s1, s0
	s_mul_i32 s1, s35, s36
	s_add_i32 s37, s0, s1
	s_mul_i32 s1, s34, s36
	v_mov_b32_e32 v3, s1
	s_sub_i32 s0, s25, s37
	v_sub_co_u32_e32 v3, vcc, s24, v3
	s_cmp_lg_u64 vcc, 0
	s_subb_u32 s41, s0, s35
	v_subrev_co_u32_e64 v4, s[0:1], s34, v3
	s_cmp_lg_u64 s[0:1], 0
	s_subb_u32 s0, s41, 0
	s_cmp_ge_u32 s0, s35
	v_readfirstlane_b32 s41, v4
	s_cselect_b32 s1, -1, 0
	s_cmp_ge_u32 s41, s34
	s_cselect_b32 s41, -1, 0
	s_cmp_eq_u32 s0, s35
	s_cselect_b32 s0, s41, s1
	s_add_u32 s1, s36, 1
	s_addc_u32 s41, s31, 0
	s_add_u32 s42, s36, 2
	s_addc_u32 s43, s31, 0
	s_cmp_lg_u32 s0, 0
	s_cselect_b32 s0, s42, s1
	s_cselect_b32 s1, s43, s41
	s_cmp_lg_u64 vcc, 0
	s_subb_u32 s37, s25, s37
	s_cmp_ge_u32 s37, s35
	v_readfirstlane_b32 s42, v3
	s_cselect_b32 s41, -1, 0
	s_cmp_ge_u32 s42, s34
	s_cselect_b32 s42, -1, 0
	s_cmp_eq_u32 s37, s35
	s_cselect_b32 s37, s42, s41
	s_cmp_lg_u32 s37, 0
	s_cselect_b32 s1, s1, s31
	s_cselect_b32 s0, s0, s36
	s_cbranch_execnz .LBB0_7
.LBB0_6:                                ;   in Loop: Header=BB0_4 Depth=1
	v_cvt_f32_u32_e32 v3, s34
	s_sub_i32 s0, 0, s34
	v_rcp_iflag_f32_e32 v3, v3
	v_mul_f32_e32 v3, 0x4f7ffffe, v3
	v_cvt_u32_f32_e32 v3, v3
	v_readfirstlane_b32 s1, v3
	s_mul_i32 s0, s0, s1
	s_mul_hi_u32 s0, s1, s0
	s_add_i32 s1, s1, s0
	s_mul_hi_u32 s0, s24, s1
	s_mul_i32 s31, s0, s34
	s_sub_i32 s31, s24, s31
	s_add_i32 s1, s0, 1
	s_sub_i32 s36, s31, s34
	s_cmp_ge_u32 s31, s34
	s_cselect_b32 s0, s1, s0
	s_cselect_b32 s31, s36, s31
	s_add_i32 s1, s0, 1
	s_cmp_ge_u32 s31, s34
	s_cselect_b32 s0, s1, s0
	s_mov_b32 s1, s30
.LBB0_7:                                ;   in Loop: Header=BB0_4 Depth=1
	s_mul_i32 s23, s34, s23
	s_mul_hi_u32 s31, s34, s22
	s_add_i32 s23, s31, s23
	s_mul_i32 s31, s35, s22
	s_add_i32 s23, s23, s31
	s_mul_i32 s31, s0, s35
	s_mul_hi_u32 s35, s0, s34
	s_load_dwordx2 s[36:37], s[4:5], 0x0
	s_add_i32 s31, s35, s31
	s_mul_i32 s35, s1, s34
	s_mul_i32 s22, s34, s22
	s_add_i32 s31, s31, s35
	s_mul_i32 s34, s0, s34
	s_sub_u32 s24, s24, s34
	s_subb_u32 s25, s25, s31
	s_waitcnt lgkmcnt(0)
	s_mul_i32 s25, s36, s25
	s_mul_hi_u32 s31, s36, s24
	s_add_i32 s25, s31, s25
	s_mul_i32 s31, s37, s24
	s_add_i32 s25, s25, s31
	s_mul_i32 s24, s36, s24
	s_add_u32 s40, s24, s40
	s_addc_u32 s39, s25, s39
	s_add_u32 s28, s28, 1
	s_addc_u32 s29, s29, 0
	;; [unrolled: 2-line block ×3, first 2 shown]
	v_cmp_ge_u64_e32 vcc, s[28:29], v[1:2]
	s_add_u32 s26, s26, 8
	s_addc_u32 s27, s27, 0
	s_cbranch_vccnz .LBB0_10
; %bb.8:                                ;   in Loop: Header=BB0_4 Depth=1
	s_mov_b64 s[24:25], s[0:1]
	s_branch .LBB0_4
.LBB0_9:                                ;   in Loop: Header=BB0_4 Depth=1
                                        ; implicit-def: $sgpr0_sgpr1
	s_branch .LBB0_6
.LBB0_10:
	v_mov_b32_e32 v1, s22
	v_mov_b32_e32 v2, s23
	v_cmp_lt_u64_e32 vcc, s[6:7], v[1:2]
	s_mov_b64 s[24:25], 0
	s_cbranch_vccnz .LBB0_12
; %bb.11:
	v_cvt_f32_u32_e32 v1, s22
	s_sub_i32 s0, 0, s22
	v_rcp_iflag_f32_e32 v1, v1
	v_mul_f32_e32 v1, 0x4f7ffffe, v1
	v_cvt_u32_f32_e32 v1, v1
	v_readfirstlane_b32 s1, v1
	s_mul_i32 s0, s0, s1
	s_mul_hi_u32 s0, s1, s0
	s_add_i32 s1, s1, s0
	s_mul_hi_u32 s0, s6, s1
	s_mul_i32 s4, s0, s22
	s_sub_i32 s4, s6, s4
	s_add_i32 s1, s0, 1
	s_sub_i32 s5, s4, s22
	s_cmp_ge_u32 s4, s22
	s_cselect_b32 s0, s1, s0
	s_cselect_b32 s4, s5, s4
	s_add_i32 s1, s0, 1
	s_cmp_ge_u32 s4, s22
	s_cselect_b32 s24, s1, s0
.LBB0_12:
	s_lshl_b64 s[0:1], s[14:15], 3
	s_add_u32 s0, s2, s0
	s_addc_u32 s1, s3, s1
	s_load_dwordx2 s[0:1], s[0:1], 0x0
	v_mul_u32_u24_e32 v1, 0x1c72, v0
	v_lshrrev_b32_e32 v86, 16, v1
	v_mul_lo_u16_e32 v1, 9, v86
	v_sub_u16_e32 v87, v0, v1
	s_waitcnt lgkmcnt(0)
	s_mul_i32 s1, s1, s24
	s_mul_hi_u32 s2, s0, s24
	s_mul_i32 s0, s0, s24
	s_add_i32 s2, s2, s1
	s_add_u32 s6, s0, s40
	s_addc_u32 s7, s2, s39
	v_mov_b32_e32 v1, s33
	v_add_co_u32_e32 v65, vcc, s38, v87
	v_addc_co_u32_e32 v66, vcc, 0, v1, vcc
	s_add_u32 s0, s38, 9
	v_mov_b32_e32 v1, s20
	s_addc_u32 s1, s33, 0
	v_mov_b32_e32 v2, s21
	v_cmp_le_u64_e32 vcc, s[0:1], v[1:2]
	v_cmp_gt_u64_e64 s[0:1], s[20:21], v[65:66]
                                        ; implicit-def: $vgpr19_vgpr20
                                        ; implicit-def: $vgpr35_vgpr36
                                        ; implicit-def: $vgpr43_vgpr44
                                        ; implicit-def: $vgpr51_vgpr52
                                        ; implicit-def: $vgpr39_vgpr40
                                        ; implicit-def: $vgpr31_vgpr32
                                        ; implicit-def: $vgpr23_vgpr24
                                        ; implicit-def: $vgpr15_vgpr16
                                        ; implicit-def: $vgpr11_vgpr12
                                        ; implicit-def: $vgpr3_vgpr4
                                        ; implicit-def: $vgpr27_vgpr28
                                        ; implicit-def: $vgpr47_vgpr48
                                        ; implicit-def: $vgpr7_vgpr8
	s_or_b64 s[2:3], vcc, s[0:1]
	s_and_saveexec_b64 s[4:5], s[2:3]
	s_cbranch_execz .LBB0_14
; %bb.13:
	v_mad_u64_u32 v[1:2], s[2:3], s10, v87, 0
	v_mad_u64_u32 v[3:4], s[2:3], s8, v86, 0
	v_add_u32_e32 v8, 16, v86
	v_mad_u64_u32 v[5:6], s[2:3], s11, v87, v[2:3]
	v_mov_b32_e32 v2, v4
	v_mad_u64_u32 v[6:7], s[2:3], s9, v86, v[2:3]
	s_lshl_b64 s[2:3], s[6:7], 4
	s_add_u32 s14, s16, s2
	s_addc_u32 s2, s17, s3
	v_mov_b32_e32 v2, v5
	v_mov_b32_e32 v4, v6
	;; [unrolled: 1-line block ×3, first 2 shown]
	v_mad_u64_u32 v[5:6], s[2:3], s8, v8, 0
	v_lshlrev_b64 v[1:2], 4, v[1:2]
	v_add_co_u32_e64 v9, s[2:3], s14, v1
	v_addc_co_u32_e64 v10, s[2:3], v7, v2, s[2:3]
	v_lshlrev_b64 v[1:2], 4, v[3:4]
	v_mov_b32_e32 v3, v6
	v_mad_u64_u32 v[3:4], s[2:3], s9, v8, v[3:4]
	v_or_b32_e32 v4, 32, v86
	v_mad_u64_u32 v[7:8], s[2:3], s8, v4, 0
	v_add_co_u32_e64 v53, s[2:3], v9, v1
	v_mov_b32_e32 v6, v3
	v_mov_b32_e32 v3, v8
	v_addc_co_u32_e64 v54, s[2:3], v10, v2, s[2:3]
	v_lshlrev_b64 v[1:2], 4, v[5:6]
	v_mad_u64_u32 v[3:4], s[2:3], s9, v4, v[3:4]
	v_add_u32_e32 v6, 48, v86
	v_mad_u64_u32 v[4:5], s[2:3], s8, v6, 0
	v_add_co_u32_e64 v55, s[2:3], v9, v1
	v_mov_b32_e32 v8, v3
	v_mov_b32_e32 v3, v5
	v_addc_co_u32_e64 v56, s[2:3], v10, v2, s[2:3]
	v_lshlrev_b64 v[1:2], 4, v[7:8]
	v_mad_u64_u32 v[5:6], s[2:3], s9, v6, v[3:4]
	v_or_b32_e32 v8, 64, v86
	v_mad_u64_u32 v[6:7], s[2:3], s8, v8, 0
	v_add_co_u32_e64 v57, s[2:3], v9, v1
	v_mov_b32_e32 v3, v7
	v_addc_co_u32_e64 v58, s[2:3], v10, v2, s[2:3]
	v_lshlrev_b64 v[1:2], 4, v[4:5]
	v_mad_u64_u32 v[3:4], s[2:3], s9, v8, v[3:4]
	v_add_u32_e32 v8, 0x50, v86
	v_mad_u64_u32 v[4:5], s[2:3], s8, v8, 0
	v_add_co_u32_e64 v59, s[2:3], v9, v1
	v_mov_b32_e32 v7, v3
	v_mov_b32_e32 v3, v5
	v_addc_co_u32_e64 v60, s[2:3], v10, v2, s[2:3]
	v_lshlrev_b64 v[1:2], 4, v[6:7]
	v_mad_u64_u32 v[5:6], s[2:3], s9, v8, v[3:4]
	v_or_b32_e32 v8, 0x60, v86
	v_mad_u64_u32 v[6:7], s[2:3], s8, v8, 0
	v_add_co_u32_e64 v61, s[2:3], v9, v1
	;; [unrolled: 15-line block ×5, first 2 shown]
	v_mov_b32_e32 v3, v7
	v_addc_co_u32_e64 v75, s[2:3], v10, v2, s[2:3]
	v_lshlrev_b64 v[1:2], 4, v[4:5]
	v_mad_u64_u32 v[3:4], s[2:3], s9, v8, v[3:4]
	v_add_co_u32_e64 v76, s[2:3], v9, v1
	v_mov_b32_e32 v7, v3
	v_addc_co_u32_e64 v77, s[2:3], v10, v2, s[2:3]
	v_lshlrev_b64 v[1:2], 4, v[6:7]
	v_add_co_u32_e64 v78, s[2:3], v9, v1
	v_addc_co_u32_e64 v79, s[2:3], v10, v2, s[2:3]
	global_load_dwordx4 v[5:8], v[53:54], off
	global_load_dwordx4 v[17:20], v[55:56], off
	;; [unrolled: 1-line block ×13, first 2 shown]
.LBB0_14:
	s_or_b64 exec, exec, s[4:5]
	s_waitcnt vmcnt(11)
	v_add_f64 v[59:60], v[19:20], v[7:8]
	v_add_f64 v[55:56], v[17:18], v[5:6]
	s_waitcnt vmcnt(3)
	v_add_f64 v[78:79], v[49:50], v[25:26]
	v_add_f64 v[76:77], v[49:50], -v[25:26]
	s_waitcnt vmcnt(2)
	v_add_f64 v[80:81], v[41:42], v[13:14]
	v_add_f64 v[74:75], v[43:44], v[15:16]
	;; [unrolled: 1-line block ×6, first 2 shown]
	v_add_f64 v[55:56], v[47:48], -v[31:32]
	v_add_f64 v[59:60], v[45:46], -v[29:30]
	v_add_f64 v[61:62], v[39:40], v[23:24]
	v_add_f64 v[63:64], v[39:40], -v[23:24]
	v_add_f64 v[72:73], v[37:38], v[21:22]
	;; [unrolled: 2-line block ×3, first 2 shown]
	v_add_f64 v[82:83], v[41:42], v[66:67]
	v_add_f64 v[66:67], v[51:52], v[27:28]
	v_add_f64 v[70:71], v[51:52], -v[27:28]
	s_mov_b32 s30, 0xe00740e9
	s_mov_b32 s26, 0x1ea71119
	s_mov_b32 s2, 0xebaa3ed8
	s_mov_b32 s20, 0xb2365da1
	v_add_f64 v[90:91], v[51:52], v[84:85]
	v_add_f64 v[88:89], v[49:50], v[82:83]
	v_add_f64 v[51:52], v[41:42], -v[13:14]
	v_add_f64 v[41:42], v[43:44], -v[15:16]
	s_waitcnt vmcnt(1)
	v_add_f64 v[43:44], v[35:36], v[11:12]
	v_add_f64 v[49:50], v[35:36], -v[11:12]
	v_add_f64 v[84:85], v[33:34], v[9:10]
	v_add_f64 v[82:83], v[33:34], -v[9:10]
	v_add_f64 v[35:36], v[39:40], v[90:91]
	v_add_f64 v[33:34], v[37:38], v[88:89]
	s_waitcnt vmcnt(0)
	v_add_f64 v[37:38], v[17:18], v[1:2]
	s_mov_b32 s34, 0xd0032e0c
	s_mov_b32 s46, 0x93053d00
	;; [unrolled: 1-line block ×5, first 2 shown]
	v_add_f64 v[35:36], v[47:48], v[35:36]
	v_add_f64 v[33:34], v[45:46], v[33:34]
	s_mov_b32 s21, 0xbfd6b1d8
	s_mov_b32 s35, 0xbfe7f3cc
	;; [unrolled: 1-line block ×3, first 2 shown]
	v_add_f64 v[39:40], v[19:20], v[3:4]
	v_add_f64 v[17:18], v[17:18], -v[1:2]
	v_add_f64 v[19:20], v[19:20], -v[3:4]
	v_add_f64 v[31:32], v[31:32], v[35:36]
	v_add_f64 v[29:30], v[29:30], v[33:34]
	s_mov_b32 s38, 0x4267c47c
	s_mov_b32 s28, 0x42a4c3d2
	;; [unrolled: 1-line block ×6, first 2 shown]
	v_add_f64 v[23:24], v[23:24], v[31:32]
	v_add_f64 v[21:22], v[21:22], v[29:30]
	v_mul_f64 v[29:30], v[37:38], s[34:35]
	s_mov_b32 s39, 0x3fddbe06
	s_mov_b32 s43, 0xbfddbe06
	;; [unrolled: 1-line block ×5, first 2 shown]
	v_add_f64 v[23:24], v[27:28], v[23:24]
	v_add_f64 v[21:22], v[25:26], v[21:22]
	v_mul_f64 v[25:26], v[37:38], s[30:31]
	v_mul_f64 v[27:28], v[37:38], s[20:21]
	s_mov_b32 s15, 0xbfefc445
	s_mov_b32 s25, 0x3fedeba7
	;; [unrolled: 1-line block ×4, first 2 shown]
	v_add_f64 v[15:16], v[15:16], v[23:24]
	v_add_f64 v[13:14], v[13:14], v[21:22]
	v_mul_f64 v[21:22], v[37:38], s[26:27]
	v_mul_f64 v[23:24], v[37:38], s[2:3]
	s_mov_b32 s41, 0xbfe5384d
	s_mov_b32 s42, s38
	;; [unrolled: 1-line block ×4, first 2 shown]
	v_add_f64 v[11:12], v[11:12], v[15:16]
	v_add_f64 v[9:10], v[9:10], v[13:14]
	s_mov_b32 s22, s24
	s_mov_b32 s40, s44
	;; [unrolled: 1-line block ×5, first 2 shown]
	v_fma_f64 v[31:32], v[19:20], s[38:39], v[25:26]
	v_add_f64 v[3:4], v[3:4], v[11:12]
	v_mul_f64 v[11:12], v[37:38], s[46:47]
	v_fma_f64 v[13:14], v[19:20], s[42:43], v[25:26]
	v_fma_f64 v[15:16], v[19:20], s[28:29], v[21:22]
	;; [unrolled: 1-line block ×6, first 2 shown]
	v_add_f64 v[1:2], v[1:2], v[9:10]
	v_fma_f64 v[9:10], v[19:20], s[22:23], v[27:28]
	v_fma_f64 v[27:28], v[19:20], s[44:45], v[29:30]
	;; [unrolled: 1-line block ×3, first 2 shown]
	v_mul_f64 v[35:36], v[17:18], s[42:43]
	v_fma_f64 v[37:38], v[19:20], s[48:49], v[11:12]
	v_mul_f64 v[45:46], v[17:18], s[36:37]
	v_fma_f64 v[11:12], v[19:20], s[50:51], v[11:12]
	v_mul_f64 v[19:20], v[17:18], s[14:15]
	v_mul_f64 v[88:89], v[17:18], s[22:23]
	v_mul_f64 v[90:91], v[17:18], s[40:41]
	v_mul_f64 v[17:18], v[17:18], s[50:51]
	v_fma_f64 v[47:48], v[39:40], s[30:31], v[35:36]
	v_fma_f64 v[35:36], v[39:40], s[30:31], -v[35:36]
	v_fma_f64 v[92:93], v[39:40], s[26:27], v[45:46]
	v_fma_f64 v[45:46], v[39:40], s[26:27], -v[45:46]
	v_fma_f64 v[94:95], v[39:40], s[2:3], v[19:20]
	v_fma_f64 v[19:20], v[39:40], s[2:3], -v[19:20]
	v_fma_f64 v[96:97], v[39:40], s[20:21], v[88:89]
	v_fma_f64 v[88:89], v[39:40], s[20:21], -v[88:89]
	v_fma_f64 v[98:99], v[39:40], s[34:35], v[90:91]
	v_fma_f64 v[90:91], v[39:40], s[34:35], -v[90:91]
	v_fma_f64 v[100:101], v[39:40], s[46:47], v[17:18]
	v_fma_f64 v[17:18], v[39:40], s[46:47], -v[17:18]
	v_add_f64 v[39:40], v[47:48], v[7:8]
	v_add_f64 v[47:48], v[92:93], v[7:8]
	;; [unrolled: 1-line block ×4, first 2 shown]
	v_mul_f64 v[19:20], v[84:85], s[26:27]
	v_mul_f64 v[102:103], v[82:83], s[36:37]
	v_add_f64 v[31:32], v[31:32], v[5:6]
	v_add_f64 v[104:105], v[9:10], v[5:6]
	;; [unrolled: 1-line block ×3, first 2 shown]
	v_mul_f64 v[108:109], v[80:81], s[2:3]
	v_mul_f64 v[110:111], v[51:52], s[14:15]
	v_add_f64 v[112:113], v[29:30], v[5:6]
	v_fma_f64 v[9:10], v[49:50], s[28:29], v[19:20]
	v_fma_f64 v[27:28], v[43:44], s[26:27], v[102:103]
	v_mul_f64 v[114:115], v[76:77], s[22:23]
	v_add_f64 v[13:14], v[13:14], v[5:6]
	v_add_f64 v[35:36], v[35:36], v[7:8]
	v_fma_f64 v[29:30], v[41:42], s[4:5], v[108:109]
	v_add_f64 v[15:16], v[15:16], v[5:6]
	v_add_f64 v[21:22], v[21:22], v[5:6]
	;; [unrolled: 1-line block ×4, first 2 shown]
	v_fma_f64 v[31:32], v[74:75], s[2:3], v[110:111]
	v_mul_f64 v[39:40], v[78:79], s[20:21]
	v_add_f64 v[45:46], v[45:46], v[7:8]
	v_add_f64 v[25:26], v[25:26], v[5:6]
	;; [unrolled: 1-line block ×12, first 2 shown]
	v_fma_f64 v[5:6], v[49:50], s[36:37], v[19:20]
	v_fma_f64 v[7:8], v[43:44], s[26:27], -v[102:103]
	v_add_f64 v[9:10], v[29:30], v[9:10]
	v_add_f64 v[11:12], v[31:32], v[27:28]
	v_fma_f64 v[17:18], v[70:71], s[24:25], v[39:40]
	v_fma_f64 v[19:20], v[66:67], s[20:21], v[114:115]
	v_mul_f64 v[27:28], v[72:73], s[34:35]
	v_mul_f64 v[29:30], v[68:69], s[40:41]
	v_add_f64 v[5:6], v[5:6], v[13:14]
	v_add_f64 v[7:8], v[7:8], v[35:36]
	v_fma_f64 v[13:14], v[41:42], s[14:15], v[108:109]
	v_fma_f64 v[31:32], v[74:75], s[2:3], -v[110:111]
	v_add_f64 v[9:10], v[17:18], v[9:10]
	v_add_f64 v[11:12], v[19:20], v[11:12]
	v_fma_f64 v[17:18], v[63:64], s[44:45], v[27:28]
	v_fma_f64 v[19:20], v[61:62], s[34:35], v[29:30]
	v_mul_f64 v[35:36], v[57:58], s[46:47]
	v_mul_f64 v[102:103], v[59:60], s[50:51]
	v_add_f64 v[5:6], v[13:14], v[5:6]
	v_add_f64 v[7:8], v[31:32], v[7:8]
	;; [unrolled: 10-line block ×17, first 2 shown]
	v_fma_f64 v[35:36], v[70:71], s[14:15], v[110:111]
	v_fma_f64 v[39:40], v[66:67], s[2:3], -v[114:115]
	v_add_f64 v[33:34], v[47:48], v[33:34]
	v_add_f64 v[45:46], v[88:89], v[45:46]
	v_mul_f64 v[47:48], v[84:85], s[2:3]
	v_mul_f64 v[88:89], v[82:83], s[4:5]
	v_fma_f64 v[104:105], v[55:56], s[36:37], v[92:93]
	v_fma_f64 v[108:109], v[53:54], s[26:27], v[102:103]
	v_add_f64 v[35:36], v[35:36], v[29:30]
	v_add_f64 v[39:40], v[39:40], v[31:32]
	v_fma_f64 v[94:95], v[63:64], s[48:49], v[94:95]
	v_fma_f64 v[96:97], v[61:62], s[46:47], -v[96:97]
	v_fma_f64 v[110:111], v[49:50], s[14:15], v[47:48]
	v_fma_f64 v[114:115], v[43:44], s[2:3], v[88:89]
	v_mul_f64 v[120:121], v[80:81], s[26:27]
	v_add_f64 v[29:30], v[104:105], v[33:34]
	v_add_f64 v[31:32], v[108:109], v[45:46]
	v_mul_f64 v[122:123], v[51:52], s[36:37]
	v_add_f64 v[33:34], v[94:95], v[35:36]
	v_add_f64 v[35:36], v[96:97], v[39:40]
	v_add_f64 v[39:40], v[110:111], v[106:107]
	v_add_f64 v[45:46], v[114:115], v[98:99]
	v_fma_f64 v[94:95], v[41:42], s[28:29], v[120:121]
	v_mul_f64 v[98:99], v[78:79], s[46:47]
	v_fma_f64 v[92:93], v[55:56], s[28:29], v[92:93]
	v_fma_f64 v[47:48], v[49:50], s[4:5], v[47:48]
	v_fma_f64 v[88:89], v[43:44], s[2:3], -v[88:89]
	v_mul_f64 v[106:107], v[72:73], s[30:31]
	v_fma_f64 v[96:97], v[74:75], s[26:27], v[122:123]
	v_mul_f64 v[104:105], v[76:77], s[48:49]
	v_add_f64 v[39:40], v[94:95], v[39:40]
	v_fma_f64 v[94:95], v[70:71], s[50:51], v[98:99]
	v_add_f64 v[33:34], v[92:93], v[33:34]
	v_add_f64 v[47:48], v[47:48], v[112:113]
	;; [unrolled: 1-line block ×3, first 2 shown]
	v_fma_f64 v[90:91], v[41:42], s[36:37], v[120:121]
	v_fma_f64 v[92:93], v[63:64], s[42:43], v[106:107]
	v_mul_f64 v[84:85], v[84:85], s[30:31]
	v_add_f64 v[45:46], v[96:97], v[45:46]
	v_add_f64 v[39:40], v[94:95], v[39:40]
	v_fma_f64 v[96:97], v[66:67], s[46:47], v[104:105]
	v_fma_f64 v[110:111], v[74:75], s[26:27], -v[122:123]
	v_mul_f64 v[82:83], v[82:83], s[38:39]
	v_add_f64 v[47:48], v[90:91], v[47:48]
	v_fma_f64 v[90:91], v[70:71], s[48:49], v[98:99]
	v_mul_f64 v[80:81], v[80:81], s[34:35]
	v_mul_f64 v[51:52], v[51:52], s[40:41]
	v_add_f64 v[39:40], v[92:93], v[39:40]
	v_fma_f64 v[92:93], v[49:50], s[42:43], v[84:85]
	v_add_f64 v[45:46], v[96:97], v[45:46]
	v_add_f64 v[88:89], v[110:111], v[88:89]
	v_fma_f64 v[96:97], v[66:67], s[46:47], -v[104:105]
	v_add_f64 v[47:48], v[90:91], v[47:48]
	v_fma_f64 v[90:91], v[43:44], s[30:31], v[82:83]
	v_mul_f64 v[78:79], v[78:79], s[26:27]
	v_fma_f64 v[49:50], v[49:50], s[38:39], v[84:85]
	v_add_f64 v[37:38], v[92:93], v[37:38]
	v_fma_f64 v[92:93], v[41:42], s[44:45], v[80:81]
	v_fma_f64 v[43:44], v[43:44], s[30:31], -v[82:83]
	v_mul_f64 v[108:109], v[68:69], s[38:39]
	v_add_f64 v[88:89], v[96:97], v[88:89]
	v_add_f64 v[90:91], v[90:91], v[100:101]
	v_fma_f64 v[96:97], v[74:75], s[34:35], v[51:52]
	v_mul_f64 v[76:77], v[76:77], s[28:29]
	v_fma_f64 v[82:83], v[70:71], s[36:37], v[78:79]
	v_add_f64 v[37:38], v[92:93], v[37:38]
	v_add_f64 v[49:50], v[49:50], v[116:117]
	v_mul_f64 v[72:73], v[72:73], s[20:21]
	v_fma_f64 v[41:42], v[41:42], s[40:41], v[80:81]
	v_add_f64 v[43:44], v[43:44], v[118:119]
	v_fma_f64 v[51:52], v[74:75], s[34:35], -v[51:52]
	v_fma_f64 v[94:95], v[61:62], s[30:31], v[108:109]
	v_add_f64 v[80:81], v[96:97], v[90:91]
	v_fma_f64 v[90:91], v[66:67], s[26:27], v[76:77]
	v_mul_f64 v[68:69], v[68:69], s[22:23]
	v_add_f64 v[37:38], v[82:83], v[37:38]
	v_fma_f64 v[74:75], v[63:64], s[24:25], v[72:73]
	v_add_f64 v[41:42], v[41:42], v[49:50]
	v_fma_f64 v[49:50], v[70:71], s[28:29], v[78:79]
	v_add_f64 v[43:44], v[51:52], v[43:44]
	v_fma_f64 v[66:67], v[66:67], s[26:27], -v[76:77]
	v_add_f64 v[45:46], v[94:95], v[45:46]
	v_fma_f64 v[94:95], v[63:64], s[38:39], v[106:107]
	v_fma_f64 v[84:85], v[61:62], s[30:31], -v[108:109]
	v_add_f64 v[70:71], v[90:91], v[80:81]
	v_fma_f64 v[51:52], v[61:62], s[20:21], v[68:69]
	v_add_f64 v[74:75], v[74:75], v[37:38]
	v_add_f64 v[37:38], v[49:50], v[41:42]
	v_mul_f64 v[41:42], v[57:58], s[20:21]
	v_fma_f64 v[49:50], v[63:64], s[22:23], v[72:73]
	v_mul_f64 v[63:64], v[59:60], s[22:23]
	v_add_f64 v[43:44], v[66:67], v[43:44]
	v_fma_f64 v[61:62], v[61:62], s[20:21], -v[68:69]
	v_mul_f64 v[57:58], v[57:58], s[2:3]
	v_mul_f64 v[59:60], v[59:60], s[4:5]
	v_fma_f64 v[102:103], v[53:54], s[26:27], -v[102:103]
	v_add_f64 v[47:48], v[94:95], v[47:48]
	v_add_f64 v[76:77], v[84:85], v[88:89]
	;; [unrolled: 1-line block ×3, first 2 shown]
	v_fma_f64 v[66:67], v[55:56], s[24:25], v[41:42]
	v_add_f64 v[49:50], v[49:50], v[37:38]
	v_fma_f64 v[37:38], v[53:54], s[20:21], v[63:64]
	v_fma_f64 v[68:69], v[55:56], s[22:23], v[41:42]
	v_fma_f64 v[63:64], v[53:54], s[20:21], -v[63:64]
	v_add_f64 v[61:62], v[61:62], v[43:44]
	v_fma_f64 v[70:71], v[55:56], s[14:15], v[57:58]
	v_fma_f64 v[72:73], v[53:54], s[2:3], v[59:60]
	;; [unrolled: 1-line block ×3, first 2 shown]
	v_fma_f64 v[53:54], v[53:54], s[2:3], -v[59:60]
	v_add_f64 v[35:36], v[102:103], v[35:36]
	v_add_f64 v[41:42], v[66:67], v[39:40]
	;; [unrolled: 1-line block ×9, first 2 shown]
	s_movk_i32 s2, 0x750
	v_mad_u32_u24 v53, v86, s2, 0
	s_movk_i32 s2, 0x75
	v_lshl_add_u32 v54, v87, 4, v53
	v_cmp_gt_u32_e64 s[2:3], s2, v0
	ds_write_b128 v54, v[1:4]
	ds_write_b128 v54, v[5:8] offset:144
	ds_write_b128 v54, v[13:16] offset:288
	;; [unrolled: 1-line block ×12, first 2 shown]
	s_waitcnt lgkmcnt(0)
	s_barrier
	s_waitcnt lgkmcnt(0)
                                        ; implicit-def: $vgpr55_vgpr56
                                        ; implicit-def: $vgpr59_vgpr60
                                        ; implicit-def: $vgpr63_vgpr64
	s_and_saveexec_b64 s[4:5], s[2:3]
	s_cbranch_execz .LBB0_16
; %bb.15:
	v_mul_i32_i24_e32 v0, 0xfffff940, v86
	v_lshlrev_b32_e32 v1, 4, v87
	v_add3_u32 v0, v53, v0, v1
	ds_read_b128 v[1:4], v0
	ds_read_b128 v[5:8], v0 offset:1872
	ds_read_b128 v[13:16], v0 offset:3744
	;; [unrolled: 1-line block ×15, first 2 shown]
.LBB0_16:
	s_or_b64 exec, exec, s[4:5]
	v_mul_lo_u16_e32 v0, 20, v86
	v_mov_b32_e32 v66, 13
	v_mul_lo_u16_sdwa v0, v0, v66 dst_sel:DWORD dst_unused:UNUSED_PAD src0_sel:BYTE_1 src1_sel:DWORD
	v_sub_u16_e32 v0, v86, v0
	v_and_b32_e32 v68, 0xff, v0
	v_mul_u32_u24_e32 v0, 15, v68
	v_lshlrev_b32_e32 v0, 4, v0
	global_load_dwordx4 v[69:72], v0, s[18:19]
	global_load_dwordx4 v[73:76], v0, s[18:19] offset:16
	global_load_dwordx4 v[77:80], v0, s[18:19] offset:32
	;; [unrolled: 1-line block ×10, first 2 shown]
	s_mov_b32 s4, 0x667f3bcd
	s_mov_b32 s5, 0xbfe6a09e
	;; [unrolled: 1-line block ×9, first 2 shown]
	s_waitcnt vmcnt(10) lgkmcnt(14)
	v_mul_f64 v[66:67], v[7:8], v[71:72]
	v_mul_f64 v[71:72], v[5:6], v[71:72]
	s_waitcnt vmcnt(9) lgkmcnt(13)
	v_mul_f64 v[116:117], v[15:16], v[75:76]
	v_mul_f64 v[75:76], v[13:14], v[75:76]
	;; [unrolled: 3-line block ×3, first 2 shown]
	v_fma_f64 v[66:67], v[5:6], v[69:70], -v[66:67]
	v_fma_f64 v[118:119], v[7:8], v[69:70], v[71:72]
	global_load_dwordx4 v[5:8], v0, s[18:19] offset:176
	global_load_dwordx4 v[69:72], v0, s[18:19] offset:192
	v_fma_f64 v[116:117], v[13:14], v[73:74], -v[116:117]
	v_fma_f64 v[120:121], v[15:16], v[73:74], v[75:76]
	global_load_dwordx4 v[13:16], v0, s[18:19] offset:208
	global_load_dwordx4 v[73:76], v0, s[18:19] offset:224
	v_fma_f64 v[21:22], v[21:22], v[77:78], -v[122:123]
	v_fma_f64 v[23:24], v[23:24], v[77:78], v[79:80]
	s_waitcnt vmcnt(11) lgkmcnt(11)
	v_mul_f64 v[77:78], v[31:32], v[83:84]
	v_mul_f64 v[79:80], v[29:30], v[83:84]
	s_waitcnt vmcnt(10) lgkmcnt(10)
	v_mul_f64 v[83:84], v[43:44], v[90:91]
	v_mul_f64 v[90:91], v[41:42], v[90:91]
	s_mov_b32 s18, 0xa6aea964
	s_mov_b32 s19, 0xbfd87de2
	;; [unrolled: 1-line block ×3, first 2 shown]
	v_fma_f64 v[29:30], v[29:30], v[81:82], -v[77:78]
	v_fma_f64 v[31:32], v[31:32], v[81:82], v[79:80]
	s_waitcnt vmcnt(8) lgkmcnt(8)
	v_mul_f64 v[81:82], v[51:52], v[98:99]
	v_mul_f64 v[77:78], v[47:48], v[94:95]
	;; [unrolled: 1-line block ×4, first 2 shown]
	v_fma_f64 v[41:42], v[41:42], v[88:89], -v[83:84]
	v_fma_f64 v[43:44], v[43:44], v[88:89], v[90:91]
	s_waitcnt vmcnt(7) lgkmcnt(7)
	v_mul_f64 v[83:84], v[39:40], v[102:103]
	v_mul_f64 v[88:89], v[37:38], v[102:103]
	v_fma_f64 v[49:50], v[49:50], v[96:97], -v[81:82]
	v_fma_f64 v[45:46], v[45:46], v[92:93], -v[77:78]
	v_fma_f64 v[47:48], v[47:48], v[92:93], v[79:80]
	s_waitcnt vmcnt(4) lgkmcnt(4)
	v_mul_f64 v[92:93], v[19:20], v[114:115]
	v_mul_f64 v[102:103], v[17:18], v[114:115]
	v_fma_f64 v[51:52], v[51:52], v[96:97], v[94:95]
	v_fma_f64 v[37:38], v[37:38], v[100:101], -v[83:84]
	v_fma_f64 v[39:40], v[39:40], v[100:101], v[88:89]
	v_mul_f64 v[90:91], v[35:36], v[106:107]
	v_mul_f64 v[98:99], v[33:34], v[106:107]
	;; [unrolled: 1-line block ×3, first 2 shown]
	v_fma_f64 v[17:18], v[17:18], v[112:113], -v[92:93]
	v_fma_f64 v[19:20], v[19:20], v[112:113], v[102:103]
	v_mul_f64 v[79:80], v[25:26], v[110:111]
	v_add_f64 v[37:38], v[1:2], -v[37:38]
	v_add_f64 v[39:40], v[3:4], -v[39:40]
	v_fma_f64 v[33:34], v[33:34], v[104:105], -v[90:91]
	v_fma_f64 v[35:36], v[35:36], v[104:105], v[98:99]
	v_fma_f64 v[25:26], v[25:26], v[108:109], -v[77:78]
	v_fma_f64 v[27:28], v[27:28], v[108:109], v[79:80]
	v_fma_f64 v[0:1], v[1:2], 2.0, -v[37:38]
	v_fma_f64 v[2:3], v[3:4], 2.0, -v[39:40]
	v_add_f64 v[33:34], v[66:67], -v[33:34]
	v_add_f64 v[35:36], v[118:119], -v[35:36]
	;; [unrolled: 1-line block ×4, first 2 shown]
	s_waitcnt vmcnt(3) lgkmcnt(3)
	v_mul_f64 v[81:82], v[11:12], v[7:8]
	v_mul_f64 v[7:8], v[9:10], v[7:8]
	s_waitcnt vmcnt(2) lgkmcnt(2)
	v_mul_f64 v[94:95], v[55:56], v[71:72]
	v_mul_f64 v[71:72], v[53:54], v[71:72]
	;; [unrolled: 3-line block ×4, first 2 shown]
	v_fma_f64 v[9:10], v[9:10], v[5:6], -v[81:82]
	v_fma_f64 v[5:6], v[11:12], v[5:6], v[7:8]
	v_fma_f64 v[7:8], v[53:54], v[69:70], -v[94:95]
	v_fma_f64 v[11:12], v[55:56], v[69:70], v[71:72]
	;; [unrolled: 2-line block ×4, first 2 shown]
	v_add_f64 v[57:58], v[29:30], -v[9:10]
	v_add_f64 v[5:6], v[31:32], -v[5:6]
	v_add_f64 v[71:72], v[21:22], -v[17:18]
	v_add_f64 v[73:74], v[23:24], -v[19:20]
	v_add_f64 v[61:62], v[43:44], -v[11:12]
	v_add_f64 v[13:14], v[47:48], -v[13:14]
	v_add_f64 v[75:76], v[49:50], -v[15:16]
	v_add_f64 v[15:16], v[51:52], -v[55:56]
	v_fma_f64 v[17:18], v[29:30], 2.0, -v[57:58]
	v_fma_f64 v[19:20], v[31:32], 2.0, -v[5:6]
	;; [unrolled: 1-line block ×6, first 2 shown]
	v_add_f64 v[10:11], v[39:40], v[57:58]
	v_fma_f64 v[23:24], v[51:52], 2.0, -v[15:16]
	v_add_f64 v[51:52], v[0:1], -v[17:18]
	v_add_f64 v[57:58], v[2:3], -v[19:20]
	v_mul_lo_u32 v12, v65, v68
	v_mov_b32_e32 v64, 4
	v_fma_f64 v[47:48], v[47:48], 2.0, -v[13:14]
	v_fma_f64 v[77:78], v[21:22], 2.0, -v[71:72]
	;; [unrolled: 1-line block ×3, first 2 shown]
	v_add_f64 v[49:50], v[25:26], -v[13:14]
	v_fma_f64 v[88:89], v[0:1], 2.0, -v[51:52]
	v_lshlrev_b32_sdwa v13, v64, v12 dst_sel:DWORD dst_unused:UNUSED_PAD src0_sel:DWORD src1_sel:BYTE_0
	v_bfe_u32 v0, v12, 8, 8
	v_mov_b32_e32 v69, 0x1000
	v_add_f64 v[59:60], v[41:42], -v[7:8]
	v_add_f64 v[8:9], v[37:38], -v[5:6]
	v_fma_f64 v[90:91], v[2:3], 2.0, -v[57:58]
	v_add_f64 v[92:93], v[66:67], -v[43:44]
	v_add_f64 v[108:109], v[33:34], -v[61:62]
	v_lshl_or_b32 v14, v0, 4, v69
	global_load_dwordx4 v[0:3], v13, s[12:13]
	global_load_dwordx4 v[4:7], v14, s[12:13]
	v_add_u32_e32 v13, 13, v68
	v_fma_f64 v[41:42], v[41:42], 2.0, -v[59:60]
	v_bfe_u32 v12, v12, 16, 8
	v_mov_b32_e32 v70, 0x2000
	v_fma_f64 v[61:62], v[66:67], 2.0, -v[92:93]
	v_add_f64 v[66:67], v[35:36], v[59:60]
	v_fma_f64 v[59:60], v[33:34], 2.0, -v[108:109]
	v_add_f64 v[33:34], v[79:80], -v[23:24]
	v_mul_lo_u32 v24, v65, v13
	v_lshl_or_b32 v20, v12, 4, v70
	v_add_f64 v[53:54], v[45:46], -v[53:54]
	v_add_f64 v[94:95], v[77:78], -v[21:22]
	;; [unrolled: 1-line block ×3, first 2 shown]
	v_lshlrev_b32_sdwa v21, v64, v24 dst_sel:DWORD dst_unused:UNUSED_PAD src0_sel:DWORD src1_sel:BYTE_0
	global_load_dwordx4 v[12:15], v20, s[12:13]
	global_load_dwordx4 v[16:19], v21, s[12:13]
	v_bfe_u32 v20, v24, 8, 8
	v_lshl_or_b32 v20, v20, 4, v69
	global_load_dwordx4 v[20:23], v20, s[12:13]
	v_fma_f64 v[29:30], v[116:117], 2.0, -v[25:26]
	v_fma_f64 v[45:46], v[45:46], 2.0, -v[53:54]
	v_add_f64 v[53:54], v[27:28], v[53:54]
	v_bfe_u32 v24, v24, 16, 8
	v_fma_f64 v[31:32], v[120:121], 2.0, -v[27:28]
	v_lshl_or_b32 v24, v24, 4, v70
	v_add_f64 v[83:84], v[55:56], -v[41:42]
	v_fma_f64 v[39:40], v[39:40], 2.0, -v[10:11]
	v_fma_f64 v[37:38], v[37:38], 2.0, -v[8:9]
	v_add_f64 v[81:82], v[29:30], -v[45:46]
	global_load_dwordx4 v[42:45], v24, s[12:13]
	v_fma_f64 v[27:28], v[27:28], 2.0, -v[53:54]
	v_add_f64 v[46:47], v[31:32], -v[47:48]
	v_fma_f64 v[25:26], v[25:26], 2.0, -v[49:50]
	v_add_f64 v[98:99], v[73:74], v[75:76]
	v_fma_f64 v[100:101], v[35:36], 2.0, -v[66:67]
	v_fma_f64 v[75:76], v[77:78], 2.0, -v[94:95]
	;; [unrolled: 1-line block ×6, first 2 shown]
	v_fma_f64 v[35:36], v[25:26], s[4:5], v[37:38]
	v_fma_f64 v[102:103], v[73:74], 2.0, -v[98:99]
	v_fma_f64 v[55:56], v[55:56], 2.0, -v[83:84]
	v_add_f64 v[116:117], v[88:89], -v[29:30]
	v_fma_f64 v[29:30], v[27:28], s[4:5], v[39:40]
	v_add_f64 v[126:127], v[61:62], -v[77:78]
	v_add_f64 v[118:119], v[90:91], -v[31:32]
	v_fma_f64 v[120:121], v[27:28], s[4:5], v[35:36]
	v_add_u32_e32 v32, 26, v68
	v_mul_lo_u32 v32, v65, v32
	v_fma_f64 v[35:36], v[79:80], s[4:5], v[59:60]
	v_fma_f64 v[104:105], v[88:89], 2.0, -v[116:117]
	v_fma_f64 v[122:123], v[25:26], s[14:15], v[29:30]
	v_fma_f64 v[30:31], v[53:54], s[14:15], v[10:11]
	v_add_f64 v[24:25], v[51:52], -v[46:47]
	v_fma_f64 v[28:29], v[49:50], s[14:15], v[8:9]
	v_fma_f64 v[110:111], v[37:38], 2.0, -v[120:121]
	v_fma_f64 v[37:38], v[102:103], s[4:5], v[100:101]
	v_fma_f64 v[128:129], v[102:103], s[4:5], v[35:36]
	v_add_u32_e32 v35, 39, v68
	v_fma_f64 v[112:113], v[39:40], 2.0, -v[122:123]
	v_lshlrev_b32_sdwa v39, v64, v32 dst_sel:DWORD dst_unused:UNUSED_PAD src0_sel:DWORD src1_sel:BYTE_0
	v_bfe_u32 v40, v32, 8, 8
	v_fma_f64 v[30:31], v[49:50], s[14:15], v[30:31]
	v_lshl_or_b32 v40, v40, 4, v69
	global_load_dwordx4 v[46:49], v39, s[12:13]
	global_load_dwordx4 v[71:74], v40, s[12:13]
	v_mul_lo_u32 v85, v65, v35
	v_bfe_u32 v32, v32, 16, 8
	v_add_f64 v[26:27], v[57:58], v[81:82]
	v_fma_f64 v[114:115], v[51:52], 2.0, -v[24:25]
	v_add_f64 v[50:51], v[55:56], -v[75:76]
	v_lshl_or_b32 v32, v32, 4, v70
	v_fma_f64 v[130:131], v[79:80], s[14:15], v[37:38]
	v_lshlrev_b32_sdwa v35, v64, v85 dst_sel:DWORD dst_unused:UNUSED_PAD src0_sel:DWORD src1_sel:BYTE_0
	global_load_dwordx4 v[75:78], v32, s[12:13]
	global_load_dwordx4 v[79:82], v35, s[12:13]
	v_bfe_u32 v32, v85, 8, 8
	v_lshl_or_b32 v32, v32, 4, v69
	v_fma_f64 v[106:107], v[90:91], 2.0, -v[118:119]
	global_load_dwordx4 v[88:91], v32, s[12:13]
	v_fma_f64 v[124:125], v[57:58], 2.0, -v[26:27]
	v_fma_f64 v[28:29], v[53:54], s[4:5], v[28:29]
	v_fma_f64 v[38:39], v[55:56], 2.0, -v[50:51]
	v_fma_f64 v[40:41], v[61:62], 2.0, -v[126:127]
	v_add_f64 v[32:33], v[83:84], -v[33:34]
	v_fma_f64 v[34:35], v[96:97], s[14:15], v[108:109]
	v_fma_f64 v[56:57], v[59:60], 2.0, -v[128:129]
	v_fma_f64 v[52:53], v[98:99], s[14:15], v[66:67]
	s_waitcnt vmcnt(9)
	v_mul_f64 v[60:61], v[2:3], v[6:7]
	v_fma_f64 v[58:59], v[100:101], 2.0, -v[130:131]
	v_add_f64 v[54:55], v[104:105], -v[38:39]
	v_add_f64 v[36:37], v[92:93], v[94:95]
	v_mul_f64 v[6:7], v[0:1], v[6:7]
	v_fma_f64 v[38:39], v[98:99], s[4:5], v[34:35]
	v_add_f64 v[34:35], v[106:107], -v[40:41]
	v_fma_f64 v[40:41], v[96:97], s[14:15], v[52:53]
	v_fma_f64 v[52:53], v[56:57], s[24:25], v[110:111]
	v_fma_f64 v[0:1], v[0:1], v[4:5], -v[60:61]
	v_fma_f64 v[60:61], v[58:59], s[24:25], v[112:113]
	v_fma_f64 v[62:63], v[92:93], 2.0, -v[36:37]
	v_fma_f64 v[2:3], v[2:3], v[4:5], v[6:7]
	s_waitcnt vmcnt(6)
	v_mul_f64 v[6:7], v[18:19], v[22:23]
	v_mul_f64 v[22:23], v[16:17], v[22:23]
	v_fma_f64 v[83:84], v[83:84], 2.0, -v[32:33]
	v_fma_f64 v[52:53], v[58:59], s[18:19], v[52:53]
	v_bfe_u32 v58, v85, 16, 8
	v_lshl_or_b32 v58, v58, 4, v70
	global_load_dwordx4 v[92:95], v58, s[12:13]
	v_mul_f64 v[4:5], v[0:1], v[14:15]
	v_fma_f64 v[6:7], v[16:17], v[20:21], -v[6:7]
	v_fma_f64 v[16:17], v[18:19], v[20:21], v[22:23]
	v_fma_f64 v[20:21], v[62:63], s[4:5], v[124:125]
	v_fma_f64 v[96:97], v[104:105], 2.0, -v[54:55]
	v_fma_f64 v[98:99], v[106:107], 2.0, -v[34:35]
	v_fma_f64 v[60:61], v[56:57], s[20:21], v[60:61]
	v_fma_f64 v[10:11], v[10:11], 2.0, -v[30:31]
	v_fma_f64 v[4:5], v[12:13], v[2:3], v[4:5]
	v_mul_f64 v[2:3], v[2:3], v[14:15]
	v_fma_f64 v[14:15], v[83:84], s[4:5], v[114:115]
	s_waitcnt vmcnt(6)
	v_mul_f64 v[18:19], v[6:7], v[44:45]
	v_mul_f64 v[22:23], v[16:17], v[44:45]
	v_fma_f64 v[58:59], v[83:84], s[14:15], v[20:21]
	v_fma_f64 v[56:57], v[112:113], 2.0, -v[60:61]
	v_fma_f64 v[8:9], v[8:9], 2.0, -v[28:29]
	v_add_f64 v[50:51], v[118:119], v[50:51]
	v_fma_f64 v[2:3], v[12:13], v[0:1], -v[2:3]
	v_fma_f64 v[62:63], v[62:63], s[4:5], v[14:15]
	v_add_u32_e32 v14, 52, v68
	v_mul_lo_u32 v83, v65, v14
	v_fma_f64 v[44:45], v[42:43], v[16:17], v[18:19]
	v_fma_f64 v[6:7], v[42:43], v[6:7], -v[22:23]
	v_mul_f64 v[0:1], v[4:5], v[98:99]
	v_lshlrev_b32_sdwa v14, v64, v83 dst_sel:DWORD dst_unused:UNUSED_PAD src0_sel:DWORD src1_sel:BYTE_0
	v_bfe_u32 v15, v83, 8, 8
	v_lshl_or_b32 v15, v15, 4, v69
	global_load_dwordx4 v[16:19], v14, s[12:13]
	global_load_dwordx4 v[20:23], v15, s[12:13]
	v_fma_f64 v[12:13], v[110:111], 2.0, -v[52:53]
	v_mul_f64 v[4:5], v[4:5], v[96:97]
	v_add_u32_e32 v14, 0x41, v68
	v_fma_f64 v[0:1], v[2:3], v[96:97], -v[0:1]
	v_mul_lo_u32 v84, v65, v14
	v_mul_f64 v[14:15], v[12:13], v[44:45]
	v_fma_f64 v[2:3], v[2:3], v[98:99], v[4:5]
	v_mul_f64 v[4:5], v[56:57], v[44:45]
	s_waitcnt vmcnt(6)
	v_mul_f64 v[42:43], v[46:47], v[73:74]
	v_bfe_u32 v44, v83, 16, 8
	v_bfe_u32 v83, v84, 8, 8
	v_lshlrev_b32_sdwa v45, v64, v84 dst_sel:DWORD dst_unused:UNUSED_PAD src0_sel:DWORD src1_sel:BYTE_0
	v_lshl_or_b32 v83, v83, 4, v69
	v_lshl_or_b32 v44, v44, 4, v70
	global_load_dwordx4 v[96:99], v83, s[12:13]
	global_load_dwordx4 v[100:103], v45, s[12:13]
	v_fma_f64 v[4:5], v[12:13], v[6:7], -v[4:5]
	v_fma_f64 v[6:7], v[56:57], v[6:7], v[14:15]
	v_mul_f64 v[12:13], v[48:49], v[73:74]
	v_fma_f64 v[14:15], v[48:49], v[71:72], v[42:43]
	global_load_dwordx4 v[104:107], v44, s[12:13]
	s_waitcnt vmcnt(6)
	v_mul_f64 v[44:45], v[79:80], v[90:91]
	v_mul_f64 v[42:43], v[81:82], v[90:91]
	v_fma_f64 v[48:49], v[108:109], 2.0, -v[38:39]
	v_fma_f64 v[56:57], v[66:67], 2.0, -v[40:41]
	;; [unrolled: 1-line block ×3, first 2 shown]
	v_fma_f64 v[12:13], v[46:47], v[71:72], -v[12:13]
	v_mul_f64 v[46:47], v[14:15], v[77:78]
	v_fma_f64 v[66:67], v[81:82], v[88:89], v[44:45]
	v_add_u32_e32 v44, 0x4e, v68
	v_mul_lo_u32 v85, v65, v44
	v_bfe_u32 v44, v84, 16, 8
	v_lshl_or_b32 v44, v44, 4, v70
	global_load_dwordx4 v[71:74], v44, s[12:13]
	v_bfe_u32 v45, v85, 8, 8
	v_lshlrev_b32_sdwa v44, v64, v85 dst_sel:DWORD dst_unused:UNUSED_PAD src0_sel:DWORD src1_sel:BYTE_0
	v_lshl_or_b32 v45, v45, 4, v69
	v_fma_f64 v[83:84], v[75:76], v[12:13], -v[46:47]
	v_mul_f64 v[12:13], v[12:13], v[77:78]
	v_fma_f64 v[42:43], v[79:80], v[88:89], -v[42:43]
	global_load_dwordx4 v[79:82], v44, s[12:13]
	global_load_dwordx4 v[88:91], v45, s[12:13]
	v_fma_f64 v[44:45], v[56:57], s[18:19], v[10:11]
	v_fma_f64 v[46:47], v[48:49], s[18:19], v[8:9]
	;; [unrolled: 1-line block ×3, first 2 shown]
	v_bfe_u32 v75, v85, 16, 8
	s_waitcnt vmcnt(8)
	v_mul_f64 v[14:15], v[42:43], v[94:95]
	v_fma_f64 v[44:45], v[48:49], s[22:23], v[44:45]
	v_fma_f64 v[48:49], v[124:125], 2.0, -v[58:59]
	v_fma_f64 v[46:47], v[56:57], s[24:25], v[46:47]
	v_lshl_or_b32 v75, v75, 4, v70
	global_load_dwordx4 v[75:78], v75, s[12:13]
	v_mul_f64 v[110:111], v[108:109], v[12:13]
	v_fma_f64 v[112:113], v[92:93], v[66:67], v[14:15]
	v_mul_f64 v[66:67], v[66:67], v[94:95]
	v_mul_f64 v[56:57], v[48:49], v[12:13]
	v_fma_f64 v[10:11], v[10:11], 2.0, -v[44:45]
	v_fma_f64 v[8:9], v[8:9], 2.0, -v[46:47]
	v_fma_f64 v[14:15], v[48:49], v[83:84], v[110:111]
	v_add_u32_e32 v48, 0x5b, v68
	v_mul_lo_u32 v85, v65, v48
	v_fma_f64 v[42:43], v[92:93], v[42:43], -v[66:67]
	v_fma_f64 v[12:13], v[108:109], v[83:84], -v[56:57]
	v_mul_f64 v[48:49], v[10:11], v[112:113]
	v_mul_f64 v[56:57], v[8:9], v[112:113]
	v_lshlrev_b32_sdwa v66, v64, v85 dst_sel:DWORD dst_unused:UNUSED_PAD src0_sel:DWORD src1_sel:BYTE_0
	global_load_dwordx4 v[92:95], v66, s[12:13]
	v_fma_f64 v[83:84], v[130:131], s[20:21], v[122:123]
	v_fma_f64 v[8:9], v[8:9], v[42:43], -v[48:49]
	v_fma_f64 v[10:11], v[10:11], v[42:43], v[56:57]
	s_waitcnt vmcnt(8)
	v_mul_f64 v[42:43], v[18:19], v[22:23]
	v_mul_f64 v[22:23], v[16:17], v[22:23]
	v_add_f64 v[48:49], v[116:117], -v[126:127]
	v_fma_f64 v[16:17], v[16:17], v[20:21], -v[42:43]
	v_bfe_u32 v42, v85, 16, 8
	v_lshl_or_b32 v42, v42, 4, v70
	global_load_dwordx4 v[112:115], v42, s[12:13]
	v_bfe_u32 v66, v85, 8, 8
	v_lshl_or_b32 v66, v66, 4, v69
	global_load_dwordx4 v[108:111], v66, s[12:13]
	v_add_u32_e32 v42, 0x68, v68
	v_fma_f64 v[18:19], v[18:19], v[20:21], v[22:23]
	s_waitcnt vmcnt(8)
	v_mul_f64 v[20:21], v[102:103], v[98:99]
	v_mul_lo_u32 v85, v65, v42
	v_fma_f64 v[66:67], v[128:129], s[20:21], v[120:121]
	v_mul_f64 v[22:23], v[100:101], v[98:99]
	v_fma_f64 v[116:117], v[116:117], 2.0, -v[48:49]
	s_waitcnt vmcnt(7)
	v_mul_f64 v[42:43], v[16:17], v[106:107]
	v_fma_f64 v[20:21], v[100:101], v[96:97], -v[20:21]
	v_fma_f64 v[56:57], v[130:131], s[24:25], v[66:67]
	v_bfe_u32 v67, v85, 8, 8
	v_lshlrev_b32_sdwa v66, v64, v85 dst_sel:DWORD dst_unused:UNUSED_PAD src0_sel:DWORD src1_sel:BYTE_0
	v_fma_f64 v[42:43], v[104:105], v[18:19], v[42:43]
	v_mul_f64 v[18:19], v[18:19], v[106:107]
	v_lshl_or_b32 v67, v67, 4, v69
	v_fma_f64 v[22:23], v[102:103], v[96:97], v[22:23]
	global_load_dwordx4 v[96:99], v66, s[12:13]
	global_load_dwordx4 v[100:103], v67, s[12:13]
	v_fma_f64 v[106:107], v[118:119], 2.0, -v[50:51]
	v_fma_f64 v[66:67], v[128:129], s[22:23], v[83:84]
	s_waitcnt vmcnt(8)
	v_mul_f64 v[83:84], v[20:21], v[73:74]
	v_fma_f64 v[120:121], v[120:121], 2.0, -v[56:57]
	v_fma_f64 v[18:19], v[104:105], v[16:17], -v[18:19]
	s_waitcnt vmcnt(6)
	v_mul_f64 v[16:17], v[79:80], v[90:91]
	v_mul_f64 v[90:91], v[81:82], v[90:91]
	;; [unrolled: 1-line block ×4, first 2 shown]
	v_fma_f64 v[83:84], v[71:72], v[22:23], v[83:84]
	v_mul_f64 v[22:23], v[22:23], v[73:74]
	v_fma_f64 v[118:119], v[122:123], 2.0, -v[66:67]
	v_fma_f64 v[122:123], v[81:82], v[88:89], v[16:17]
	v_fma_f64 v[88:89], v[79:80], v[88:89], -v[90:91]
	v_fma_f64 v[16:17], v[116:117], v[18:19], -v[104:105]
	v_fma_f64 v[18:19], v[106:107], v[18:19], v[42:43]
	v_mul_f64 v[42:43], v[120:121], v[83:84]
	v_fma_f64 v[22:23], v[71:72], v[20:21], -v[22:23]
	v_mul_f64 v[20:21], v[118:119], v[83:84]
	v_add_u32_e32 v71, 0x75, v68
	s_waitcnt vmcnt(5)
	v_mul_f64 v[90:91], v[122:123], v[77:78]
	v_mul_f64 v[104:105], v[88:89], v[77:78]
	v_mul_lo_u32 v124, v65, v71
	v_bfe_u32 v71, v85, 16, 8
	v_add_u32_e32 v85, 0x82, v68
	v_mul_lo_u32 v85, v65, v85
	v_lshl_or_b32 v81, v71, 4, v70
	v_lshlrev_b32_sdwa v82, v64, v124 dst_sel:DWORD dst_unused:UNUSED_PAD src0_sel:DWORD src1_sel:BYTE_0
	global_load_dwordx4 v[71:74], v81, s[12:13]
	global_load_dwordx4 v[77:80], v82, s[12:13]
	v_bfe_u32 v81, v124, 8, 8
	v_lshl_or_b32 v81, v81, 4, v69
	v_fma_f64 v[20:21], v[120:121], v[22:23], -v[20:21]
	v_fma_f64 v[22:23], v[118:119], v[22:23], v[42:43]
	v_fma_f64 v[42:43], v[75:76], v[88:89], -v[90:91]
	v_lshlrev_b32_sdwa v116, v64, v85 dst_sel:DWORD dst_unused:UNUSED_PAD src0_sel:DWORD src1_sel:BYTE_0
	v_bfe_u32 v88, v85, 8, 8
	global_load_dwordx4 v[81:84], v81, s[12:13]
	v_fma_f64 v[75:76], v[75:76], v[122:123], v[104:105]
	v_lshl_or_b32 v117, v88, 4, v69
	global_load_dwordx4 v[88:91], v116, s[12:13]
	global_load_dwordx4 v[104:107], v117, s[12:13]
	v_bfe_u32 v85, v85, 16, 8
	v_lshl_or_b32 v85, v85, 4, v70
	v_fma_f64 v[122:123], v[36:37], s[14:15], v[26:27]
	v_fma_f64 v[122:123], v[32:33], s[14:15], v[122:123]
	s_waitcnt vmcnt(7)
	v_mul_f64 v[116:117], v[94:95], v[110:111]
	v_mul_f64 v[110:111], v[92:93], v[110:111]
	v_fma_f64 v[26:27], v[26:27], 2.0, -v[122:123]
	v_fma_f64 v[116:117], v[92:93], v[108:109], -v[116:117]
	v_bfe_u32 v92, v124, 16, 8
	v_lshl_or_b32 v92, v92, 4, v70
	v_fma_f64 v[118:119], v[94:95], v[108:109], v[110:111]
	global_load_dwordx4 v[92:95], v92, s[12:13]
	v_mul_f64 v[120:121], v[118:119], v[114:115]
	global_load_dwordx4 v[108:111], v85, s[12:13]
	v_mul_f64 v[114:115], v[116:117], v[114:115]
	v_add_u32_e32 v85, 0x8f, v68
	v_mul_lo_u32 v85, v65, v85
	v_fma_f64 v[116:117], v[112:113], v[116:117], -v[120:121]
	v_fma_f64 v[120:121], v[32:33], s[14:15], v[24:25]
	v_fma_f64 v[112:113], v[112:113], v[118:119], v[114:115]
	s_waitcnt vmcnt(7)
	v_mul_f64 v[114:115], v[98:99], v[102:103]
	v_mul_f64 v[102:103], v[96:97], v[102:103]
	v_fma_f64 v[32:33], v[38:39], s[22:23], v[28:29]
	v_fma_f64 v[120:121], v[36:37], s[4:5], v[120:121]
	;; [unrolled: 1-line block ×3, first 2 shown]
	v_fma_f64 v[114:115], v[96:97], v[100:101], -v[114:115]
	v_fma_f64 v[118:119], v[98:99], v[100:101], v[102:103]
	v_bfe_u32 v100, v85, 8, 8
	v_lshlrev_b32_sdwa v96, v64, v85 dst_sel:DWORD dst_unused:UNUSED_PAD src0_sel:DWORD src1_sel:BYTE_0
	v_lshl_or_b32 v100, v100, 4, v69
	global_load_dwordx4 v[96:99], v96, s[12:13]
	v_fma_f64 v[124:125], v[40:41], s[18:19], v[32:33]
	global_load_dwordx4 v[100:103], v100, s[12:13]
	v_fma_f64 v[126:127], v[38:39], s[20:21], v[36:37]
	v_fma_f64 v[24:25], v[24:25], 2.0, -v[120:121]
	v_mul_f64 v[40:41], v[26:27], v[75:76]
	s_and_b64 s[4:5], s[2:3], vcc
	v_fma_f64 v[28:29], v[28:29], 2.0, -v[124:125]
	v_fma_f64 v[30:31], v[30:31], 2.0, -v[126:127]
	v_fma_f64 v[40:41], v[24:25], v[42:43], -v[40:41]
	s_waitcnt vmcnt(6)
	v_mul_f64 v[32:33], v[79:80], v[83:84]
	v_mul_f64 v[36:37], v[77:78], v[83:84]
	s_waitcnt vmcnt(4)
	v_mul_f64 v[38:39], v[90:91], v[106:107]
	v_fma_f64 v[77:78], v[77:78], v[81:82], -v[32:33]
	v_fma_f64 v[32:33], v[79:80], v[81:82], v[36:37]
	v_mul_f64 v[36:37], v[114:115], v[73:74]
	v_mul_f64 v[79:80], v[88:89], v[106:107]
	v_fma_f64 v[83:84], v[88:89], v[104:105], -v[38:39]
	v_mul_f64 v[38:39], v[24:25], v[75:76]
	v_mul_f64 v[75:76], v[30:31], v[112:113]
	v_fma_f64 v[81:82], v[71:72], v[118:119], v[36:37]
	v_mul_f64 v[36:37], v[118:119], v[73:74]
	v_fma_f64 v[24:25], v[90:91], v[104:105], v[79:80]
	;; [unrolled: 2-line block ×3, first 2 shown]
	v_fma_f64 v[90:91], v[71:72], v[114:115], -v[36:37]
	v_fma_f64 v[36:37], v[28:29], v[116:117], -v[75:76]
	v_mul_f64 v[71:72], v[34:35], v[81:82]
	v_fma_f64 v[38:39], v[30:31], v[116:117], v[79:80]
	s_waitcnt vmcnt(3)
	v_mul_f64 v[73:74], v[77:78], v[94:95]
	v_mul_f64 v[30:31], v[54:55], v[81:82]
	;; [unrolled: 1-line block ×3, first 2 shown]
	s_waitcnt vmcnt(2)
	v_mul_f64 v[88:89], v[83:84], v[110:111]
	v_mul_f64 v[28:29], v[24:25], v[110:111]
	v_fma_f64 v[73:74], v[92:93], v[32:33], v[73:74]
	v_fma_f64 v[32:33], v[54:55], v[90:91], -v[71:72]
	v_fma_f64 v[26:27], v[92:93], v[77:78], -v[26:27]
	v_fma_f64 v[34:35], v[34:35], v[90:91], v[30:31]
	v_fma_f64 v[24:25], v[108:109], v[24:25], v[88:89]
	v_fma_f64 v[77:78], v[108:109], v[83:84], -v[28:29]
	v_mul_f64 v[54:55], v[60:61], v[73:74]
	v_mul_f64 v[75:76], v[52:53], v[73:74]
	;; [unrolled: 1-line block ×4, first 2 shown]
	v_bfe_u32 v24, v85, 16, 8
	v_lshl_or_b32 v24, v24, 4, v70
	global_load_dwordx4 v[71:74], v24, s[12:13]
	v_fma_f64 v[28:29], v[52:53], v[26:27], -v[54:55]
	v_fma_f64 v[30:31], v[60:61], v[26:27], v[75:76]
	v_add_u32_e32 v26, 0x9c, v68
	v_mul_lo_u32 v85, v65, v26
	v_add_u32_e32 v53, 0xa9, v68
	v_mul_lo_u32 v112, v65, v53
	v_fma_f64 v[24:25], v[62:63], v[77:78], -v[79:80]
	v_lshlrev_b32_sdwa v62, v64, v85 dst_sel:DWORD dst_unused:UNUSED_PAD src0_sel:DWORD src1_sel:BYTE_0
	v_bfe_u32 v52, v85, 8, 8
	v_fma_f64 v[26:27], v[58:59], v[77:78], v[81:82]
	v_lshl_or_b32 v63, v52, 4, v69
	global_load_dwordx4 v[52:55], v62, s[12:13]
	global_load_dwordx4 v[58:61], v63, s[12:13]
	v_lshlrev_b32_sdwa v62, v64, v112 dst_sel:DWORD dst_unused:UNUSED_PAD src0_sel:DWORD src1_sel:BYTE_0
	global_load_dwordx4 v[75:78], v62, s[12:13]
	v_add_u32_e32 v62, 0xb6, v68
	v_add_u32_e32 v68, 0xc3, v68
	v_mul_lo_u32 v113, v65, v62
	v_mul_lo_u32 v114, v65, v68
	v_bfe_u32 v62, v112, 8, 8
	v_lshl_or_b32 v62, v62, 4, v69
	global_load_dwordx4 v[79:82], v62, s[12:13]
	v_lshlrev_b32_sdwa v62, v64, v113 dst_sel:DWORD dst_unused:UNUSED_PAD src0_sel:DWORD src1_sel:BYTE_0
	v_bfe_u32 v63, v113, 8, 8
	v_bfe_u32 v68, v114, 8, 8
	v_lshl_or_b32 v63, v63, 4, v69
	global_load_dwordx4 v[88:91], v62, s[12:13]
	global_load_dwordx4 v[92:95], v63, s[12:13]
	v_lshlrev_b32_sdwa v62, v64, v114 dst_sel:DWORD dst_unused:UNUSED_PAD src0_sel:DWORD src1_sel:BYTE_0
	v_lshl_or_b32 v68, v68, 4, v69
	s_waitcnt vmcnt(7)
	v_mul_f64 v[83:84], v[98:99], v[102:103]
	v_mul_f64 v[110:111], v[96:97], v[102:103]
	global_load_dwordx4 v[62:65], v62, s[12:13]
	s_nop 0
	global_load_dwordx4 v[102:105], v68, s[12:13]
	v_bfe_u32 v68, v85, 16, 8
	v_lshl_or_b32 v68, v68, 4, v70
	global_load_dwordx4 v[106:109], v68, s[12:13]
	v_bfe_u32 v85, v112, 16, 8
	v_lshl_or_b32 v85, v85, 4, v70
	v_fma_f64 v[68:69], v[96:97], v[100:101], -v[83:84]
	v_fma_f64 v[83:84], v[98:99], v[100:101], v[110:111]
	global_load_dwordx4 v[96:99], v85, s[12:13]
	v_bfe_u32 v85, v113, 16, 8
	v_lshl_or_b32 v85, v85, 4, v70
	global_load_dwordx4 v[110:113], v85, s[12:13]
	v_bfe_u32 v85, v114, 16, 8
	v_lshl_or_b32 v70, v85, 4, v70
	global_load_dwordx4 v[114:117], v70, s[12:13]
	s_waitcnt vmcnt(12)
	v_mul_f64 v[100:101], v[83:84], v[73:74]
	v_fma_f64 v[100:101], v[71:72], v[68:69], -v[100:101]
	v_mul_f64 v[68:69], v[68:69], v[73:74]
	v_fma_f64 v[68:69], v[71:72], v[83:84], v[68:69]
	s_waitcnt vmcnt(10)
	v_mul_f64 v[70:71], v[54:55], v[60:61]
	v_mul_f64 v[60:61], v[52:53], v[60:61]
	;; [unrolled: 1-line block ×3, first 2 shown]
	v_fma_f64 v[70:71], v[52:53], v[58:59], -v[70:71]
	v_fma_f64 v[58:59], v[54:55], v[58:59], v[60:61]
	s_waitcnt vmcnt(8)
	v_mul_f64 v[54:55], v[77:78], v[81:82]
	v_mul_f64 v[60:61], v[75:76], v[81:82]
	s_waitcnt vmcnt(6)
	v_mul_f64 v[81:82], v[90:91], v[94:95]
	v_fma_f64 v[52:53], v[46:47], v[100:101], -v[72:73]
	v_mul_f64 v[46:47], v[46:47], v[68:69]
	s_waitcnt vmcnt(4)
	v_mul_f64 v[68:69], v[64:65], v[104:105]
	v_fma_f64 v[72:73], v[75:76], v[79:80], -v[54:55]
	v_fma_f64 v[60:61], v[77:78], v[79:80], v[60:61]
	s_waitcnt vmcnt(3)
	v_mul_f64 v[74:75], v[70:71], v[108:109]
	v_mul_f64 v[76:77], v[88:89], v[94:95]
	v_fma_f64 v[78:79], v[88:89], v[92:93], -v[81:82]
	v_mul_f64 v[82:83], v[62:63], v[104:105]
	v_mul_f64 v[80:81], v[58:59], v[108:109]
	v_fma_f64 v[62:63], v[62:63], v[102:103], -v[68:69]
	v_fma_f64 v[54:55], v[44:45], v[100:101], v[46:47]
	s_waitcnt vmcnt(2)
	v_mul_f64 v[44:45], v[72:73], v[98:99]
	v_fma_f64 v[46:47], v[106:107], v[58:59], v[74:75]
	v_fma_f64 v[58:59], v[90:91], v[92:93], v[76:77]
	s_waitcnt vmcnt(1)
	v_mul_f64 v[68:69], v[78:79], v[112:113]
	v_fma_f64 v[64:65], v[64:65], v[102:103], v[82:83]
	v_fma_f64 v[70:71], v[106:107], v[70:71], -v[80:81]
	s_waitcnt vmcnt(0)
	v_mul_f64 v[74:75], v[62:63], v[116:117]
	v_mul_f64 v[76:77], v[60:61], v[98:99]
	v_fma_f64 v[44:45], v[96:97], v[60:61], v[44:45]
	v_mul_f64 v[60:61], v[50:51], v[46:47]
	v_mul_f64 v[80:81], v[58:59], v[112:113]
	v_fma_f64 v[58:59], v[110:111], v[58:59], v[68:69]
	;; [unrolled: 3-line block ×3, first 2 shown]
	v_fma_f64 v[72:73], v[96:97], v[72:73], -v[76:77]
	v_mul_f64 v[74:75], v[66:67], v[44:45]
	v_mul_f64 v[44:45], v[56:57], v[44:45]
	v_fma_f64 v[76:77], v[110:111], v[78:79], -v[80:81]
	v_mul_f64 v[78:79], v[122:123], v[58:59]
	v_mul_f64 v[80:81], v[120:121], v[58:59]
	v_fma_f64 v[68:69], v[114:115], v[62:63], -v[68:69]
	v_mul_f64 v[82:83], v[126:127], v[64:65]
	v_mul_f64 v[64:65], v[124:125], v[64:65]
	v_fma_f64 v[60:61], v[48:49], v[70:71], -v[60:61]
	v_fma_f64 v[62:63], v[50:51], v[70:71], v[46:47]
	v_fma_f64 v[56:57], v[56:57], v[72:73], -v[74:75]
	v_fma_f64 v[58:59], v[66:67], v[72:73], v[44:45]
	;; [unrolled: 2-line block ×4, first 2 shown]
	v_add_u32_e32 v67, 13, v86
	v_add_u32_e32 v66, 26, v86
	;; [unrolled: 1-line block ×4, first 2 shown]
	s_and_saveexec_b64 s[12:13], s[4:5]
	s_cbranch_execz .LBB0_18
; %bb.17:
	v_mad_u64_u32 v[68:69], s[4:5], s10, v87, 0
	v_mad_u64_u32 v[70:71], s[4:5], s8, v86, 0
	v_add_u32_e32 v76, 0x41, v86
	v_mad_u64_u32 v[72:73], s[4:5], s11, v87, v[69:70]
	v_mov_b32_e32 v69, v71
	v_mad_u64_u32 v[73:74], s[4:5], s9, v86, v[69:70]
	s_lshl_b64 s[4:5], s[6:7], 4
	s_add_u32 s14, s16, s4
	s_addc_u32 s4, s17, s5
	v_mov_b32_e32 v69, v72
	v_mov_b32_e32 v71, v73
	;; [unrolled: 1-line block ×3, first 2 shown]
	v_mad_u64_u32 v[72:73], s[4:5], s8, v67, 0
	v_lshlrev_b64 v[68:69], 4, v[68:69]
	v_add_co_u32_e64 v75, s[4:5], s14, v68
	v_addc_co_u32_e64 v74, s[4:5], v74, v69, s[4:5]
	v_lshlrev_b64 v[68:69], 4, v[70:71]
	v_mov_b32_e32 v70, v73
	v_mad_u64_u32 v[70:71], s[4:5], s9, v67, v[70:71]
	v_add_co_u32_e64 v68, s[4:5], v75, v68
	v_addc_co_u32_e64 v69, s[4:5], v74, v69, s[4:5]
	v_mov_b32_e32 v73, v70
	v_mad_u64_u32 v[70:71], s[4:5], s8, v66, 0
	global_store_dwordx4 v[68:69], v[0:3], off
	v_lshlrev_b64 v[68:69], 4, v[72:73]
	v_add_co_u32_e64 v68, s[4:5], v75, v68
	v_addc_co_u32_e64 v69, s[4:5], v74, v69, s[4:5]
	v_mad_u64_u32 v[71:72], s[4:5], s9, v66, v[71:72]
	v_mad_u64_u32 v[72:73], s[4:5], s8, v65, 0
	global_store_dwordx4 v[68:69], v[4:7], off
	v_lshlrev_b64 v[68:69], 4, v[70:71]
	v_mov_b32_e32 v70, v73
	v_mad_u64_u32 v[70:71], s[4:5], s9, v65, v[70:71]
	v_add_co_u32_e64 v68, s[4:5], v75, v68
	v_addc_co_u32_e64 v69, s[4:5], v74, v69, s[4:5]
	v_mov_b32_e32 v73, v70
	v_mad_u64_u32 v[70:71], s[4:5], s8, v64, 0
	global_store_dwordx4 v[68:69], v[12:15], off
	v_lshlrev_b64 v[68:69], 4, v[72:73]
	v_add_co_u32_e64 v68, s[4:5], v75, v68
	v_addc_co_u32_e64 v69, s[4:5], v74, v69, s[4:5]
	v_mad_u64_u32 v[71:72], s[4:5], s9, v64, v[71:72]
	v_mad_u64_u32 v[72:73], s[4:5], s8, v76, 0
	global_store_dwordx4 v[68:69], v[8:11], off
	v_lshlrev_b64 v[68:69], 4, v[70:71]
	v_mov_b32_e32 v70, v73
	v_mad_u64_u32 v[70:71], s[4:5], s9, v76, v[70:71]
	v_add_co_u32_e64 v68, s[4:5], v75, v68
	v_addc_co_u32_e64 v69, s[4:5], v74, v69, s[4:5]
	v_mov_b32_e32 v73, v70
	global_store_dwordx4 v[68:69], v[16:19], off
	v_lshlrev_b64 v[68:69], 4, v[72:73]
	v_add_u32_e32 v72, 0x4e, v86
	v_mad_u64_u32 v[70:71], s[4:5], s8, v72, 0
	v_add_co_u32_e64 v68, s[4:5], v75, v68
	v_addc_co_u32_e64 v69, s[4:5], v74, v69, s[4:5]
	v_mad_u64_u32 v[71:72], s[4:5], s9, v72, v[71:72]
	v_add_u32_e32 v76, 0x5b, v86
	v_mad_u64_u32 v[72:73], s[4:5], s8, v76, 0
	global_store_dwordx4 v[68:69], v[20:23], off
	v_lshlrev_b64 v[68:69], 4, v[70:71]
	v_mov_b32_e32 v70, v73
	v_mad_u64_u32 v[70:71], s[4:5], s9, v76, v[70:71]
	v_add_co_u32_e64 v68, s[4:5], v75, v68
	v_addc_co_u32_e64 v69, s[4:5], v74, v69, s[4:5]
	v_mov_b32_e32 v73, v70
	global_store_dwordx4 v[68:69], v[40:43], off
	v_lshlrev_b64 v[68:69], 4, v[72:73]
	v_add_u32_e32 v72, 0x68, v86
	v_mad_u64_u32 v[70:71], s[4:5], s8, v72, 0
	v_add_co_u32_e64 v68, s[4:5], v75, v68
	v_addc_co_u32_e64 v69, s[4:5], v74, v69, s[4:5]
	v_mad_u64_u32 v[71:72], s[4:5], s9, v72, v[71:72]
	v_add_u32_e32 v76, 0x75, v86
	;; [unrolled: 16-line block ×5, first 2 shown]
	v_mad_u64_u32 v[72:73], s[4:5], s8, v76, 0
	global_store_dwordx4 v[68:69], v[56:59], off
	v_lshlrev_b64 v[68:69], 4, v[70:71]
	v_mov_b32_e32 v70, v73
	v_mad_u64_u32 v[70:71], s[4:5], s9, v76, v[70:71]
	v_add_co_u32_e64 v68, s[4:5], v75, v68
	v_addc_co_u32_e64 v69, s[4:5], v74, v69, s[4:5]
	v_mov_b32_e32 v73, v70
	global_store_dwordx4 v[68:69], v[48:51], off
	v_lshlrev_b64 v[68:69], 4, v[72:73]
	v_add_co_u32_e64 v68, s[4:5], v75, v68
	v_addc_co_u32_e64 v69, s[4:5], v74, v69, s[4:5]
	global_store_dwordx4 v[68:69], v[44:47], off
.LBB0_18:
	s_or_b64 exec, exec, s[12:13]
	s_xor_b64 s[4:5], vcc, -1
	s_and_b64 s[0:1], s[2:3], s[0:1]
	s_and_b64 s[0:1], s[4:5], s[0:1]
	s_and_saveexec_b64 s[2:3], s[0:1]
	s_cbranch_execz .LBB0_20
; %bb.19:
	v_mad_u64_u32 v[68:69], s[0:1], s10, v87, 0
	v_mad_u64_u32 v[70:71], s[0:1], s8, v86, 0
	;; [unrolled: 1-line block ×3, first 2 shown]
	v_mov_b32_e32 v69, v71
	v_mad_u64_u32 v[73:74], s[0:1], s9, v86, v[69:70]
	s_lshl_b64 s[0:1], s[6:7], 4
	s_add_u32 s2, s16, s0
	v_mov_b32_e32 v69, v72
	s_addc_u32 s0, s17, s1
	v_mov_b32_e32 v71, v73
	v_lshlrev_b64 v[68:69], 4, v[68:69]
	v_mov_b32_e32 v74, s0
	v_mad_u64_u32 v[72:73], s[0:1], s8, v67, 0
	v_add_co_u32_e32 v75, vcc, s2, v68
	v_addc_co_u32_e32 v74, vcc, v74, v69, vcc
	v_lshlrev_b64 v[68:69], 4, v[70:71]
	v_mov_b32_e32 v70, v73
	v_mad_u64_u32 v[70:71], s[0:1], s9, v67, v[70:71]
	v_add_co_u32_e32 v67, vcc, v75, v68
	v_addc_co_u32_e32 v68, vcc, v74, v69, vcc
	global_store_dwordx4 v[67:68], v[0:3], off
	v_mov_b32_e32 v73, v70
	v_mad_u64_u32 v[2:3], s[0:1], s8, v66, 0
	v_lshlrev_b64 v[0:1], 4, v[72:73]
	v_mad_u64_u32 v[66:67], s[0:1], s9, v66, v[3:4]
	v_mad_u64_u32 v[67:68], s[0:1], s8, v65, 0
	v_add_co_u32_e32 v0, vcc, v75, v0
	v_addc_co_u32_e32 v1, vcc, v74, v1, vcc
	v_mov_b32_e32 v3, v66
	global_store_dwordx4 v[0:1], v[4:7], off
	v_lshlrev_b64 v[0:1], 4, v[2:3]
	v_mov_b32_e32 v2, v68
	v_mad_u64_u32 v[2:3], s[0:1], s9, v65, v[2:3]
	v_add_co_u32_e32 v0, vcc, v75, v0
	v_mov_b32_e32 v68, v2
	v_mad_u64_u32 v[2:3], s[0:1], s8, v64, 0
	v_addc_co_u32_e32 v1, vcc, v74, v1, vcc
	v_mad_u64_u32 v[3:4], s[0:1], s9, v64, v[3:4]
	v_add_u32_e32 v6, 0x41, v86
	global_store_dwordx4 v[0:1], v[12:15], off
	v_lshlrev_b64 v[0:1], 4, v[67:68]
	v_mad_u64_u32 v[4:5], s[0:1], s8, v6, 0
	v_add_co_u32_e32 v0, vcc, v75, v0
	v_addc_co_u32_e32 v1, vcc, v74, v1, vcc
	global_store_dwordx4 v[0:1], v[8:11], off
	v_lshlrev_b64 v[0:1], 4, v[2:3]
	v_mov_b32_e32 v2, v5
	v_mad_u64_u32 v[2:3], s[0:1], s9, v6, v[2:3]
	v_add_co_u32_e32 v0, vcc, v75, v0
	v_addc_co_u32_e32 v1, vcc, v74, v1, vcc
	v_mov_b32_e32 v5, v2
	global_store_dwordx4 v[0:1], v[16:19], off
	v_lshlrev_b64 v[0:1], 4, v[4:5]
	v_add_u32_e32 v4, 0x4e, v86
	v_mad_u64_u32 v[2:3], s[0:1], s8, v4, 0
	v_add_u32_e32 v6, 0x5b, v86
	v_add_co_u32_e32 v0, vcc, v75, v0
	v_mad_u64_u32 v[3:4], s[0:1], s9, v4, v[3:4]
	v_mad_u64_u32 v[4:5], s[0:1], s8, v6, 0
	v_addc_co_u32_e32 v1, vcc, v74, v1, vcc
	global_store_dwordx4 v[0:1], v[20:23], off
	v_lshlrev_b64 v[0:1], 4, v[2:3]
	v_mov_b32_e32 v2, v5
	v_mad_u64_u32 v[2:3], s[0:1], s9, v6, v[2:3]
	v_add_co_u32_e32 v0, vcc, v75, v0
	v_addc_co_u32_e32 v1, vcc, v74, v1, vcc
	v_mov_b32_e32 v5, v2
	global_store_dwordx4 v[0:1], v[40:43], off
	v_lshlrev_b64 v[0:1], 4, v[4:5]
	v_add_u32_e32 v4, 0x68, v86
	v_mad_u64_u32 v[2:3], s[0:1], s8, v4, 0
	v_add_u32_e32 v6, 0x75, v86
	v_add_co_u32_e32 v0, vcc, v75, v0
	v_mad_u64_u32 v[3:4], s[0:1], s9, v4, v[3:4]
	v_mad_u64_u32 v[4:5], s[0:1], s8, v6, 0
	;; [unrolled: 16-line block ×5, first 2 shown]
	v_addc_co_u32_e32 v1, vcc, v74, v1, vcc
	global_store_dwordx4 v[0:1], v[56:59], off
	v_lshlrev_b64 v[0:1], 4, v[2:3]
	v_mov_b32_e32 v2, v5
	v_mad_u64_u32 v[2:3], s[0:1], s9, v6, v[2:3]
	v_add_co_u32_e32 v0, vcc, v75, v0
	v_addc_co_u32_e32 v1, vcc, v74, v1, vcc
	v_mov_b32_e32 v5, v2
	global_store_dwordx4 v[0:1], v[48:51], off
	v_lshlrev_b64 v[0:1], 4, v[4:5]
	v_add_co_u32_e32 v0, vcc, v75, v0
	v_addc_co_u32_e32 v1, vcc, v74, v1, vcc
	global_store_dwordx4 v[0:1], v[44:47], off
.LBB0_20:
	s_endpgm
	.section	.rodata,"a",@progbits
	.p2align	6, 0x0
	.amdhsa_kernel fft_rtc_fwd_len208_factors_13_16_wgs_144_tpt_16_dp_ip_CI_sbcc_twdbase8_3step_dirReg
		.amdhsa_group_segment_fixed_size 0
		.amdhsa_private_segment_fixed_size 0
		.amdhsa_kernarg_size 96
		.amdhsa_user_sgpr_count 6
		.amdhsa_user_sgpr_private_segment_buffer 1
		.amdhsa_user_sgpr_dispatch_ptr 0
		.amdhsa_user_sgpr_queue_ptr 0
		.amdhsa_user_sgpr_kernarg_segment_ptr 1
		.amdhsa_user_sgpr_dispatch_id 0
		.amdhsa_user_sgpr_flat_scratch_init 0
		.amdhsa_user_sgpr_private_segment_size 0
		.amdhsa_uses_dynamic_stack 0
		.amdhsa_system_sgpr_private_segment_wavefront_offset 0
		.amdhsa_system_sgpr_workgroup_id_x 1
		.amdhsa_system_sgpr_workgroup_id_y 0
		.amdhsa_system_sgpr_workgroup_id_z 0
		.amdhsa_system_sgpr_workgroup_info 0
		.amdhsa_system_vgpr_workitem_id 0
		.amdhsa_next_free_vgpr 132
		.amdhsa_next_free_sgpr 52
		.amdhsa_reserve_vcc 1
		.amdhsa_reserve_flat_scratch 0
		.amdhsa_float_round_mode_32 0
		.amdhsa_float_round_mode_16_64 0
		.amdhsa_float_denorm_mode_32 3
		.amdhsa_float_denorm_mode_16_64 3
		.amdhsa_dx10_clamp 1
		.amdhsa_ieee_mode 1
		.amdhsa_fp16_overflow 0
		.amdhsa_exception_fp_ieee_invalid_op 0
		.amdhsa_exception_fp_denorm_src 0
		.amdhsa_exception_fp_ieee_div_zero 0
		.amdhsa_exception_fp_ieee_overflow 0
		.amdhsa_exception_fp_ieee_underflow 0
		.amdhsa_exception_fp_ieee_inexact 0
		.amdhsa_exception_int_div_zero 0
	.end_amdhsa_kernel
	.text
.Lfunc_end0:
	.size	fft_rtc_fwd_len208_factors_13_16_wgs_144_tpt_16_dp_ip_CI_sbcc_twdbase8_3step_dirReg, .Lfunc_end0-fft_rtc_fwd_len208_factors_13_16_wgs_144_tpt_16_dp_ip_CI_sbcc_twdbase8_3step_dirReg
                                        ; -- End function
	.section	.AMDGPU.csdata,"",@progbits
; Kernel info:
; codeLenInByte = 13060
; NumSgprs: 56
; NumVgprs: 132
; ScratchSize: 0
; MemoryBound: 1
; FloatMode: 240
; IeeeMode: 1
; LDSByteSize: 0 bytes/workgroup (compile time only)
; SGPRBlocks: 6
; VGPRBlocks: 32
; NumSGPRsForWavesPerEU: 56
; NumVGPRsForWavesPerEU: 132
; Occupancy: 1
; WaveLimiterHint : 1
; COMPUTE_PGM_RSRC2:SCRATCH_EN: 0
; COMPUTE_PGM_RSRC2:USER_SGPR: 6
; COMPUTE_PGM_RSRC2:TRAP_HANDLER: 0
; COMPUTE_PGM_RSRC2:TGID_X_EN: 1
; COMPUTE_PGM_RSRC2:TGID_Y_EN: 0
; COMPUTE_PGM_RSRC2:TGID_Z_EN: 0
; COMPUTE_PGM_RSRC2:TIDIG_COMP_CNT: 0
	.type	__hip_cuid_272ec2656e22b369,@object ; @__hip_cuid_272ec2656e22b369
	.section	.bss,"aw",@nobits
	.globl	__hip_cuid_272ec2656e22b369
__hip_cuid_272ec2656e22b369:
	.byte	0                               ; 0x0
	.size	__hip_cuid_272ec2656e22b369, 1

	.ident	"AMD clang version 19.0.0git (https://github.com/RadeonOpenCompute/llvm-project roc-6.4.0 25133 c7fe45cf4b819c5991fe208aaa96edf142730f1d)"
	.section	".note.GNU-stack","",@progbits
	.addrsig
	.addrsig_sym __hip_cuid_272ec2656e22b369
	.amdgpu_metadata
---
amdhsa.kernels:
  - .args:
      - .actual_access:  read_only
        .address_space:  global
        .offset:         0
        .size:           8
        .value_kind:     global_buffer
      - .address_space:  global
        .offset:         8
        .size:           8
        .value_kind:     global_buffer
      - .offset:         16
        .size:           8
        .value_kind:     by_value
      - .actual_access:  read_only
        .address_space:  global
        .offset:         24
        .size:           8
        .value_kind:     global_buffer
      - .actual_access:  read_only
        .address_space:  global
        .offset:         32
        .size:           8
        .value_kind:     global_buffer
      - .offset:         40
        .size:           8
        .value_kind:     by_value
      - .actual_access:  read_only
        .address_space:  global
        .offset:         48
        .size:           8
        .value_kind:     global_buffer
      - .actual_access:  read_only
        .address_space:  global
        .offset:         56
        .size:           8
        .value_kind:     global_buffer
      - .offset:         64
        .size:           4
        .value_kind:     by_value
      - .actual_access:  read_only
        .address_space:  global
        .offset:         72
        .size:           8
        .value_kind:     global_buffer
      - .actual_access:  read_only
        .address_space:  global
        .offset:         80
        .size:           8
        .value_kind:     global_buffer
      - .address_space:  global
        .offset:         88
        .size:           8
        .value_kind:     global_buffer
    .group_segment_fixed_size: 0
    .kernarg_segment_align: 8
    .kernarg_segment_size: 96
    .language:       OpenCL C
    .language_version:
      - 2
      - 0
    .max_flat_workgroup_size: 144
    .name:           fft_rtc_fwd_len208_factors_13_16_wgs_144_tpt_16_dp_ip_CI_sbcc_twdbase8_3step_dirReg
    .private_segment_fixed_size: 0
    .sgpr_count:     56
    .sgpr_spill_count: 0
    .symbol:         fft_rtc_fwd_len208_factors_13_16_wgs_144_tpt_16_dp_ip_CI_sbcc_twdbase8_3step_dirReg.kd
    .uniform_work_group_size: 1
    .uses_dynamic_stack: false
    .vgpr_count:     132
    .vgpr_spill_count: 0
    .wavefront_size: 64
amdhsa.target:   amdgcn-amd-amdhsa--gfx906
amdhsa.version:
  - 1
  - 2
...

	.end_amdgpu_metadata
